;; amdgpu-corpus repo=ROCm/rocFFT kind=compiled arch=gfx1201 opt=O3
	.text
	.amdgcn_target "amdgcn-amd-amdhsa--gfx1201"
	.amdhsa_code_object_version 6
	.protected	fft_rtc_back_len1836_factors_17_3_3_2_6_wgs_153_tpt_153_halfLds_sp_ip_CI_unitstride_sbrr_C2R_dirReg ; -- Begin function fft_rtc_back_len1836_factors_17_3_3_2_6_wgs_153_tpt_153_halfLds_sp_ip_CI_unitstride_sbrr_C2R_dirReg
	.globl	fft_rtc_back_len1836_factors_17_3_3_2_6_wgs_153_tpt_153_halfLds_sp_ip_CI_unitstride_sbrr_C2R_dirReg
	.p2align	8
	.type	fft_rtc_back_len1836_factors_17_3_3_2_6_wgs_153_tpt_153_halfLds_sp_ip_CI_unitstride_sbrr_C2R_dirReg,@function
fft_rtc_back_len1836_factors_17_3_3_2_6_wgs_153_tpt_153_halfLds_sp_ip_CI_unitstride_sbrr_C2R_dirReg: ; @fft_rtc_back_len1836_factors_17_3_3_2_6_wgs_153_tpt_153_halfLds_sp_ip_CI_unitstride_sbrr_C2R_dirReg
; %bb.0:
	s_clause 0x2
	s_load_b128 s[4:7], s[0:1], 0x0
	s_load_b64 s[8:9], s[0:1], 0x50
	s_load_b64 s[10:11], s[0:1], 0x18
	v_mul_u32_u24_e32 v1, 0x1ad, v0
	v_mov_b32_e32 v3, 0
	s_delay_alu instid0(VALU_DEP_2) | instskip(NEXT) | instid1(VALU_DEP_1)
	v_lshrrev_b32_e32 v1, 16, v1
	v_add_nc_u32_e32 v5, ttmp9, v1
	v_mov_b32_e32 v1, 0
	v_mov_b32_e32 v2, 0
	;; [unrolled: 1-line block ×3, first 2 shown]
	s_wait_kmcnt 0x0
	v_cmp_lt_u64_e64 s2, s[6:7], 2
	s_delay_alu instid0(VALU_DEP_1)
	s_and_b32 vcc_lo, exec_lo, s2
	s_cbranch_vccnz .LBB0_8
; %bb.1:
	s_load_b64 s[2:3], s[0:1], 0x10
	v_mov_b32_e32 v1, 0
	v_mov_b32_e32 v2, 0
	s_add_nc_u64 s[12:13], s[10:11], 8
	s_mov_b64 s[14:15], 1
	s_wait_kmcnt 0x0
	s_add_nc_u64 s[16:17], s[2:3], 8
	s_mov_b32 s3, 0
.LBB0_2:                                ; =>This Inner Loop Header: Depth=1
	s_load_b64 s[18:19], s[16:17], 0x0
                                        ; implicit-def: $vgpr7_vgpr8
	s_mov_b32 s2, exec_lo
	s_wait_kmcnt 0x0
	v_or_b32_e32 v4, s19, v6
	s_delay_alu instid0(VALU_DEP_1)
	v_cmpx_ne_u64_e32 0, v[3:4]
	s_wait_alu 0xfffe
	s_xor_b32 s20, exec_lo, s2
	s_cbranch_execz .LBB0_4
; %bb.3:                                ;   in Loop: Header=BB0_2 Depth=1
	s_cvt_f32_u32 s2, s18
	s_cvt_f32_u32 s21, s19
	s_sub_nc_u64 s[24:25], 0, s[18:19]
	s_wait_alu 0xfffe
	s_delay_alu instid0(SALU_CYCLE_1) | instskip(SKIP_1) | instid1(SALU_CYCLE_2)
	s_fmamk_f32 s2, s21, 0x4f800000, s2
	s_wait_alu 0xfffe
	v_s_rcp_f32 s2, s2
	s_delay_alu instid0(TRANS32_DEP_1) | instskip(SKIP_1) | instid1(SALU_CYCLE_2)
	s_mul_f32 s2, s2, 0x5f7ffffc
	s_wait_alu 0xfffe
	s_mul_f32 s21, s2, 0x2f800000
	s_wait_alu 0xfffe
	s_delay_alu instid0(SALU_CYCLE_2) | instskip(SKIP_1) | instid1(SALU_CYCLE_2)
	s_trunc_f32 s21, s21
	s_wait_alu 0xfffe
	s_fmamk_f32 s2, s21, 0xcf800000, s2
	s_cvt_u32_f32 s23, s21
	s_wait_alu 0xfffe
	s_delay_alu instid0(SALU_CYCLE_1) | instskip(SKIP_1) | instid1(SALU_CYCLE_2)
	s_cvt_u32_f32 s22, s2
	s_wait_alu 0xfffe
	s_mul_u64 s[26:27], s[24:25], s[22:23]
	s_wait_alu 0xfffe
	s_mul_hi_u32 s29, s22, s27
	s_mul_i32 s28, s22, s27
	s_mul_hi_u32 s2, s22, s26
	s_mul_i32 s30, s23, s26
	s_wait_alu 0xfffe
	s_add_nc_u64 s[28:29], s[2:3], s[28:29]
	s_mul_hi_u32 s21, s23, s26
	s_mul_hi_u32 s31, s23, s27
	s_add_co_u32 s2, s28, s30
	s_wait_alu 0xfffe
	s_add_co_ci_u32 s2, s29, s21
	s_mul_i32 s26, s23, s27
	s_add_co_ci_u32 s27, s31, 0
	s_wait_alu 0xfffe
	s_add_nc_u64 s[26:27], s[2:3], s[26:27]
	s_wait_alu 0xfffe
	v_add_co_u32 v4, s2, s22, s26
	s_delay_alu instid0(VALU_DEP_1) | instskip(SKIP_1) | instid1(VALU_DEP_1)
	s_cmp_lg_u32 s2, 0
	s_add_co_ci_u32 s23, s23, s27
	v_readfirstlane_b32 s22, v4
	s_wait_alu 0xfffe
	s_delay_alu instid0(VALU_DEP_1)
	s_mul_u64 s[24:25], s[24:25], s[22:23]
	s_wait_alu 0xfffe
	s_mul_hi_u32 s27, s22, s25
	s_mul_i32 s26, s22, s25
	s_mul_hi_u32 s2, s22, s24
	s_mul_i32 s28, s23, s24
	s_wait_alu 0xfffe
	s_add_nc_u64 s[26:27], s[2:3], s[26:27]
	s_mul_hi_u32 s21, s23, s24
	s_mul_hi_u32 s22, s23, s25
	s_wait_alu 0xfffe
	s_add_co_u32 s2, s26, s28
	s_add_co_ci_u32 s2, s27, s21
	s_mul_i32 s24, s23, s25
	s_add_co_ci_u32 s25, s22, 0
	s_wait_alu 0xfffe
	s_add_nc_u64 s[24:25], s[2:3], s[24:25]
	s_wait_alu 0xfffe
	v_add_co_u32 v4, s2, v4, s24
	s_delay_alu instid0(VALU_DEP_1) | instskip(SKIP_1) | instid1(VALU_DEP_1)
	s_cmp_lg_u32 s2, 0
	s_add_co_ci_u32 s2, s23, s25
	v_mul_hi_u32 v13, v5, v4
	s_wait_alu 0xfffe
	v_mad_co_u64_u32 v[7:8], null, v5, s2, 0
	v_mad_co_u64_u32 v[9:10], null, v6, v4, 0
	;; [unrolled: 1-line block ×3, first 2 shown]
	s_delay_alu instid0(VALU_DEP_3) | instskip(SKIP_1) | instid1(VALU_DEP_4)
	v_add_co_u32 v4, vcc_lo, v13, v7
	s_wait_alu 0xfffd
	v_add_co_ci_u32_e32 v7, vcc_lo, 0, v8, vcc_lo
	s_delay_alu instid0(VALU_DEP_2) | instskip(SKIP_1) | instid1(VALU_DEP_2)
	v_add_co_u32 v4, vcc_lo, v4, v9
	s_wait_alu 0xfffd
	v_add_co_ci_u32_e32 v4, vcc_lo, v7, v10, vcc_lo
	s_wait_alu 0xfffd
	v_add_co_ci_u32_e32 v7, vcc_lo, 0, v12, vcc_lo
	s_delay_alu instid0(VALU_DEP_2) | instskip(SKIP_1) | instid1(VALU_DEP_2)
	v_add_co_u32 v4, vcc_lo, v4, v11
	s_wait_alu 0xfffd
	v_add_co_ci_u32_e32 v9, vcc_lo, 0, v7, vcc_lo
	s_delay_alu instid0(VALU_DEP_2) | instskip(SKIP_1) | instid1(VALU_DEP_3)
	v_mul_lo_u32 v10, s19, v4
	v_mad_co_u64_u32 v[7:8], null, s18, v4, 0
	v_mul_lo_u32 v11, s18, v9
	s_delay_alu instid0(VALU_DEP_2) | instskip(NEXT) | instid1(VALU_DEP_2)
	v_sub_co_u32 v7, vcc_lo, v5, v7
	v_add3_u32 v8, v8, v11, v10
	s_delay_alu instid0(VALU_DEP_1) | instskip(SKIP_1) | instid1(VALU_DEP_1)
	v_sub_nc_u32_e32 v10, v6, v8
	s_wait_alu 0xfffd
	v_subrev_co_ci_u32_e64 v10, s2, s19, v10, vcc_lo
	v_add_co_u32 v11, s2, v4, 2
	s_wait_alu 0xf1ff
	v_add_co_ci_u32_e64 v12, s2, 0, v9, s2
	v_sub_co_u32 v13, s2, v7, s18
	v_sub_co_ci_u32_e32 v8, vcc_lo, v6, v8, vcc_lo
	s_wait_alu 0xf1ff
	v_subrev_co_ci_u32_e64 v10, s2, 0, v10, s2
	s_delay_alu instid0(VALU_DEP_3) | instskip(NEXT) | instid1(VALU_DEP_3)
	v_cmp_le_u32_e32 vcc_lo, s18, v13
	v_cmp_eq_u32_e64 s2, s19, v8
	s_wait_alu 0xfffd
	v_cndmask_b32_e64 v13, 0, -1, vcc_lo
	v_cmp_le_u32_e32 vcc_lo, s19, v10
	s_wait_alu 0xfffd
	v_cndmask_b32_e64 v14, 0, -1, vcc_lo
	v_cmp_le_u32_e32 vcc_lo, s18, v7
	;; [unrolled: 3-line block ×3, first 2 shown]
	s_wait_alu 0xfffd
	v_cndmask_b32_e64 v15, 0, -1, vcc_lo
	v_cmp_eq_u32_e32 vcc_lo, s19, v10
	s_wait_alu 0xf1ff
	s_delay_alu instid0(VALU_DEP_2)
	v_cndmask_b32_e64 v7, v15, v7, s2
	s_wait_alu 0xfffd
	v_cndmask_b32_e32 v10, v14, v13, vcc_lo
	v_add_co_u32 v13, vcc_lo, v4, 1
	s_wait_alu 0xfffd
	v_add_co_ci_u32_e32 v14, vcc_lo, 0, v9, vcc_lo
	s_delay_alu instid0(VALU_DEP_3) | instskip(SKIP_2) | instid1(VALU_DEP_3)
	v_cmp_ne_u32_e32 vcc_lo, 0, v10
	s_wait_alu 0xfffd
	v_cndmask_b32_e32 v10, v13, v11, vcc_lo
	v_cndmask_b32_e32 v8, v14, v12, vcc_lo
	v_cmp_ne_u32_e32 vcc_lo, 0, v7
	s_wait_alu 0xfffd
	s_delay_alu instid0(VALU_DEP_2)
	v_dual_cndmask_b32 v7, v4, v10 :: v_dual_cndmask_b32 v8, v9, v8
.LBB0_4:                                ;   in Loop: Header=BB0_2 Depth=1
	s_wait_alu 0xfffe
	s_and_not1_saveexec_b32 s2, s20
	s_cbranch_execz .LBB0_6
; %bb.5:                                ;   in Loop: Header=BB0_2 Depth=1
	v_cvt_f32_u32_e32 v4, s18
	s_sub_co_i32 s20, 0, s18
	s_delay_alu instid0(VALU_DEP_1) | instskip(NEXT) | instid1(TRANS32_DEP_1)
	v_rcp_iflag_f32_e32 v4, v4
	v_mul_f32_e32 v4, 0x4f7ffffe, v4
	s_delay_alu instid0(VALU_DEP_1) | instskip(SKIP_1) | instid1(VALU_DEP_1)
	v_cvt_u32_f32_e32 v4, v4
	s_wait_alu 0xfffe
	v_mul_lo_u32 v7, s20, v4
	s_delay_alu instid0(VALU_DEP_1) | instskip(NEXT) | instid1(VALU_DEP_1)
	v_mul_hi_u32 v7, v4, v7
	v_add_nc_u32_e32 v4, v4, v7
	s_delay_alu instid0(VALU_DEP_1) | instskip(NEXT) | instid1(VALU_DEP_1)
	v_mul_hi_u32 v4, v5, v4
	v_mul_lo_u32 v7, v4, s18
	v_add_nc_u32_e32 v8, 1, v4
	s_delay_alu instid0(VALU_DEP_2) | instskip(NEXT) | instid1(VALU_DEP_1)
	v_sub_nc_u32_e32 v7, v5, v7
	v_subrev_nc_u32_e32 v9, s18, v7
	v_cmp_le_u32_e32 vcc_lo, s18, v7
	s_wait_alu 0xfffd
	s_delay_alu instid0(VALU_DEP_2) | instskip(NEXT) | instid1(VALU_DEP_1)
	v_dual_cndmask_b32 v7, v7, v9 :: v_dual_cndmask_b32 v4, v4, v8
	v_cmp_le_u32_e32 vcc_lo, s18, v7
	s_delay_alu instid0(VALU_DEP_2) | instskip(SKIP_1) | instid1(VALU_DEP_1)
	v_add_nc_u32_e32 v8, 1, v4
	s_wait_alu 0xfffd
	v_dual_cndmask_b32 v7, v4, v8 :: v_dual_mov_b32 v8, v3
.LBB0_6:                                ;   in Loop: Header=BB0_2 Depth=1
	s_wait_alu 0xfffe
	s_or_b32 exec_lo, exec_lo, s2
	s_load_b64 s[20:21], s[12:13], 0x0
	s_delay_alu instid0(VALU_DEP_1)
	v_mul_lo_u32 v4, v8, s18
	v_mul_lo_u32 v11, v7, s19
	v_mad_co_u64_u32 v[9:10], null, v7, s18, 0
	s_add_nc_u64 s[14:15], s[14:15], 1
	s_add_nc_u64 s[12:13], s[12:13], 8
	s_wait_alu 0xfffe
	v_cmp_ge_u64_e64 s2, s[14:15], s[6:7]
	s_add_nc_u64 s[16:17], s[16:17], 8
	s_delay_alu instid0(VALU_DEP_2) | instskip(NEXT) | instid1(VALU_DEP_3)
	v_add3_u32 v4, v10, v11, v4
	v_sub_co_u32 v5, vcc_lo, v5, v9
	s_wait_alu 0xfffd
	s_delay_alu instid0(VALU_DEP_2) | instskip(SKIP_3) | instid1(VALU_DEP_2)
	v_sub_co_ci_u32_e32 v4, vcc_lo, v6, v4, vcc_lo
	s_and_b32 vcc_lo, exec_lo, s2
	s_wait_kmcnt 0x0
	v_mul_lo_u32 v6, s21, v5
	v_mul_lo_u32 v4, s20, v4
	v_mad_co_u64_u32 v[1:2], null, s20, v5, v[1:2]
	s_delay_alu instid0(VALU_DEP_1)
	v_add3_u32 v2, v6, v2, v4
	s_wait_alu 0xfffe
	s_cbranch_vccnz .LBB0_9
; %bb.7:                                ;   in Loop: Header=BB0_2 Depth=1
	v_dual_mov_b32 v5, v7 :: v_dual_mov_b32 v6, v8
	s_branch .LBB0_2
.LBB0_8:
	v_dual_mov_b32 v8, v6 :: v_dual_mov_b32 v7, v5
.LBB0_9:
	s_lshl_b64 s[2:3], s[6:7], 3
	v_mul_hi_u32 v4, 0x1ac5702, v0
	s_wait_alu 0xfffe
	s_add_nc_u64 s[2:3], s[10:11], s[2:3]
	s_load_b64 s[2:3], s[2:3], 0x0
	s_load_b64 s[0:1], s[0:1], 0x20
	s_wait_kmcnt 0x0
	v_mul_lo_u32 v5, s2, v8
	v_mul_lo_u32 v6, s3, v7
	v_mad_co_u64_u32 v[2:3], null, s2, v7, v[1:2]
	v_mul_u32_u24_e32 v1, 0x99, v4
	v_cmp_gt_u64_e32 vcc_lo, s[0:1], v[7:8]
	s_delay_alu instid0(VALU_DEP_2) | instskip(NEXT) | instid1(VALU_DEP_4)
	v_sub_nc_u32_e32 v0, v0, v1
	v_add3_u32 v3, v6, v3, v5
	s_delay_alu instid0(VALU_DEP_2) | instskip(NEXT) | instid1(VALU_DEP_2)
	v_dual_mov_b32 v1, 0 :: v_dual_mov_b32 v32, v0
	v_lshlrev_b64_e32 v[34:35], 3, v[2:3]
	s_and_saveexec_b32 s1, vcc_lo
	s_cbranch_execz .LBB0_13
; %bb.10:
	s_delay_alu instid0(VALU_DEP_2) | instskip(NEXT) | instid1(VALU_DEP_2)
	v_lshlrev_b64_e32 v[4:5], 3, v[0:1]
	v_add_co_u32 v2, s0, s8, v34
	s_wait_alu 0xf1ff
	v_add_co_ci_u32_e64 v3, s0, s9, v35, s0
	v_lshl_add_u32 v30, v0, 3, 0
	s_delay_alu instid0(VALU_DEP_3) | instskip(SKIP_1) | instid1(VALU_DEP_3)
	v_add_co_u32 v4, s0, v2, v4
	s_wait_alu 0xf1ff
	v_add_co_ci_u32_e64 v5, s0, v3, v5, s0
	s_delay_alu instid0(VALU_DEP_3)
	v_add_nc_u32_e32 v31, 0x1000, v30
	v_add_nc_u32_e32 v32, 0x1c00, v30
	s_mov_b32 s2, exec_lo
	s_clause 0xb
	global_load_b64 v[6:7], v[4:5], off
	global_load_b64 v[8:9], v[4:5], off offset:1224
	global_load_b64 v[10:11], v[4:5], off offset:2448
	;; [unrolled: 1-line block ×11, first 2 shown]
	v_dual_mov_b32 v5, v1 :: v_dual_mov_b32 v4, v0
	v_add_nc_u32_e32 v1, 0x800, v30
	v_add_nc_u32_e32 v33, 0x2400, v30
	;; [unrolled: 1-line block ×3, first 2 shown]
	s_wait_loadcnt 0xa
	ds_store_2addr_b64 v30, v[6:7], v[8:9] offset1:153
	s_wait_loadcnt 0x8
	ds_store_2addr_b64 v1, v[10:11], v[12:13] offset0:50 offset1:203
	s_wait_loadcnt 0x6
	ds_store_2addr_b64 v31, v[14:15], v[16:17] offset0:100 offset1:253
	;; [unrolled: 2-line block ×5, first 2 shown]
	v_cmpx_eq_u32_e32 0x98, v0
	s_cbranch_execz .LBB0_12
; %bb.11:
	global_load_b64 v[1:2], v[2:3], off offset:14688
	v_dual_mov_b32 v3, 0 :: v_dual_mov_b32 v4, 0x98
	v_dual_mov_b32 v5, 0 :: v_dual_mov_b32 v0, 0x98
	s_wait_loadcnt 0x0
	ds_store_b64 v3, v[1:2] offset:14688
.LBB0_12:
	s_wait_alu 0xfffe
	s_or_b32 exec_lo, exec_lo, s2
	v_mov_b32_e32 v32, v0
	v_dual_mov_b32 v0, v4 :: v_dual_mov_b32 v1, v5
.LBB0_13:
	s_wait_alu 0xfffe
	s_or_b32 exec_lo, exec_lo, s1
	s_delay_alu instid0(VALU_DEP_2)
	v_lshlrev_b32_e32 v2, 3, v32
	global_wb scope:SCOPE_SE
	s_wait_dscnt 0x0
	s_barrier_signal -1
	s_barrier_wait -1
	global_inv scope:SCOPE_SE
	v_add_nc_u32_e32 v40, 0, v2
	v_sub_nc_u32_e32 v2, 0, v2
	v_lshlrev_b64_e32 v[36:37], 3, v[0:1]
	s_mov_b32 s1, exec_lo
	ds_load_b32 v3, v40
	ds_load_b32 v4, v2 offset:14688
	s_wait_dscnt 0x0
	v_dual_sub_f32 v1, v3, v4 :: v_dual_add_f32 v0, v4, v3
	v_cmpx_ne_u32_e32 0, v32
	s_wait_alu 0xfffe
	s_xor_b32 s1, exec_lo, s1
	s_cbranch_execz .LBB0_15
; %bb.14:
	v_add_co_u32 v0, s0, s4, v36
	s_wait_alu 0xf1ff
	v_add_co_ci_u32_e64 v1, s0, s5, v37, s0
	v_dual_add_f32 v7, v4, v3 :: v_dual_sub_f32 v8, v3, v4
	global_load_b64 v[5:6], v[0:1], off offset:14552
	ds_load_b32 v0, v2 offset:14692
	ds_load_b32 v1, v40 offset:4
	s_wait_dscnt 0x0
	v_dual_add_f32 v9, v0, v1 :: v_dual_sub_f32 v0, v1, v0
	s_wait_loadcnt 0x0
	v_fma_f32 v3, -v8, v6, v7
	s_delay_alu instid0(VALU_DEP_2) | instskip(SKIP_2) | instid1(VALU_DEP_4)
	v_fma_f32 v4, v9, v6, -v0
	v_fma_f32 v10, v8, v6, v7
	v_fma_f32 v1, v9, v6, v0
	v_fmac_f32_e32 v3, v5, v9
	s_delay_alu instid0(VALU_DEP_4) | instskip(NEXT) | instid1(VALU_DEP_4)
	v_fmac_f32_e32 v4, v8, v5
	v_fma_f32 v0, -v5, v9, v10
	s_delay_alu instid0(VALU_DEP_4)
	v_fmac_f32_e32 v1, v8, v5
	ds_store_b64 v2, v[3:4] offset:14688
.LBB0_15:
	s_wait_alu 0xfffe
	s_and_not1_saveexec_b32 s0, s1
	s_cbranch_execz .LBB0_17
; %bb.16:
	v_mov_b32_e32 v5, 0
	ds_load_b64 v[3:4], v5 offset:7344
	s_wait_dscnt 0x0
	v_dual_mul_f32 v4, -2.0, v4 :: v_dual_add_f32 v3, v3, v3
	ds_store_b64 v5, v[3:4] offset:7344
.LBB0_17:
	s_wait_alu 0xfffe
	s_or_b32 exec_lo, exec_lo, s0
	v_mov_b32_e32 v33, 0
	s_add_nc_u64 s[0:1], s[4:5], 0x38d8
	v_add_nc_u32_e32 v41, 0x2800, v40
	v_add_nc_u32_e32 v42, 0x2000, v40
	s_delay_alu instid0(VALU_DEP_3) | instskip(SKIP_2) | instid1(VALU_DEP_2)
	v_lshlrev_b64_e32 v[3:4], 3, v[32:33]
	v_add_nc_u32_e32 v33, 0x1000, v40
	s_wait_alu 0xfffe
	v_add_co_u32 v3, s0, s0, v3
	s_wait_alu 0xf1ff
	s_delay_alu instid0(VALU_DEP_3)
	v_add_co_ci_u32_e64 v4, s0, s1, v4, s0
	s_clause 0x4
	global_load_b64 v[5:6], v[3:4], off offset:1224
	global_load_b64 v[7:8], v[3:4], off offset:2448
	;; [unrolled: 1-line block ×5, first 2 shown]
	ds_store_b64 v40, v[0:1]
	ds_load_b64 v[0:1], v40 offset:1224
	ds_load_b64 v[13:14], v2 offset:13464
	s_mov_b32 s1, exec_lo
	s_wait_dscnt 0x0
	v_add_f32_e32 v16, v14, v1
	v_add_f32_e32 v15, v0, v13
	v_dual_sub_f32 v17, v0, v13 :: v_dual_sub_f32 v0, v1, v14
	s_wait_loadcnt 0x4
	s_delay_alu instid0(VALU_DEP_1) | instskip(NEXT) | instid1(VALU_DEP_2)
	v_fma_f32 v18, v17, v6, v15
	v_fma_f32 v1, v16, v6, v0
	v_fma_f32 v13, -v17, v6, v15
	v_fma_f32 v14, v16, v6, -v0
	s_delay_alu instid0(VALU_DEP_4) | instskip(NEXT) | instid1(VALU_DEP_4)
	v_fma_f32 v0, -v5, v16, v18
	v_fmac_f32_e32 v1, v17, v5
	s_delay_alu instid0(VALU_DEP_4) | instskip(NEXT) | instid1(VALU_DEP_4)
	v_fmac_f32_e32 v13, v5, v16
	v_fmac_f32_e32 v14, v17, v5
	ds_store_b64 v40, v[0:1] offset:1224
	ds_store_b64 v2, v[13:14] offset:13464
	ds_load_b64 v[0:1], v40 offset:2448
	ds_load_b64 v[5:6], v2 offset:12240
	s_wait_dscnt 0x0
	v_add_f32_e32 v13, v0, v5
	v_add_f32_e32 v14, v6, v1
	v_dual_sub_f32 v15, v0, v5 :: v_dual_sub_f32 v0, v1, v6
	s_wait_loadcnt 0x3
	s_delay_alu instid0(VALU_DEP_1) | instskip(NEXT) | instid1(VALU_DEP_2)
	v_fma_f32 v16, v15, v8, v13
	v_fma_f32 v1, v14, v8, v0
	v_fma_f32 v5, -v15, v8, v13
	v_fma_f32 v6, v14, v8, -v0
	s_delay_alu instid0(VALU_DEP_4) | instskip(NEXT) | instid1(VALU_DEP_4)
	v_fma_f32 v0, -v7, v14, v16
	v_fmac_f32_e32 v1, v15, v7
	s_delay_alu instid0(VALU_DEP_4) | instskip(NEXT) | instid1(VALU_DEP_4)
	v_fmac_f32_e32 v5, v7, v14
	v_fmac_f32_e32 v6, v15, v7
	ds_store_b64 v40, v[0:1] offset:2448
	ds_store_b64 v2, v[5:6] offset:12240
	ds_load_b64 v[0:1], v40 offset:3672
	ds_load_b64 v[5:6], v2 offset:11016
	;; [unrolled: 20-line block ×3, first 2 shown]
	s_wait_dscnt 0x0
	v_add_f32_e32 v7, v0, v5
	v_add_f32_e32 v8, v6, v1
	v_dual_sub_f32 v9, v0, v5 :: v_dual_sub_f32 v0, v1, v6
	s_wait_loadcnt 0x1
	s_delay_alu instid0(VALU_DEP_1) | instskip(NEXT) | instid1(VALU_DEP_2)
	v_fma_f32 v10, v9, v12, v7
	v_fma_f32 v1, v8, v12, v0
	v_fma_f32 v5, -v9, v12, v7
	v_fma_f32 v6, v8, v12, -v0
	s_delay_alu instid0(VALU_DEP_4) | instskip(NEXT) | instid1(VALU_DEP_4)
	v_fma_f32 v0, -v11, v8, v10
	v_fmac_f32_e32 v1, v9, v11
	s_delay_alu instid0(VALU_DEP_3)
	v_dual_fmac_f32 v5, v11, v8 :: v_dual_fmac_f32 v6, v9, v11
	ds_store_b64 v40, v[0:1] offset:4896
	ds_store_b64 v2, v[5:6] offset:9792
	ds_load_b64 v[0:1], v40 offset:6120
	ds_load_b64 v[5:6], v2 offset:8568
	v_add_nc_u32_e32 v10, 0x400, v40
	s_wait_dscnt 0x0
	v_dual_add_f32 v8, v6, v1 :: v_dual_add_nc_u32 v11, 0xc00, v40
	v_sub_f32_e32 v9, v0, v5
	v_dual_add_f32 v7, v0, v5 :: v_dual_sub_f32 v0, v1, v6
	s_wait_loadcnt 0x0
	s_delay_alu instid0(VALU_DEP_1) | instskip(SKIP_1) | instid1(VALU_DEP_2)
	v_fma_f32 v6, v8, v4, -v0
	v_fma_f32 v1, v8, v4, v0
	v_fmac_f32_e32 v6, v9, v3
	v_fma_f32 v12, v9, v4, v7
	v_fma_f32 v5, -v9, v4, v7
	s_delay_alu instid0(VALU_DEP_4) | instskip(SKIP_1) | instid1(VALU_DEP_4)
	v_dual_fmac_f32 v1, v9, v3 :: v_dual_add_nc_u32 v4, 0x1800, v40
	v_add_nc_u32_e32 v7, 0x2c00, v40
	v_fma_f32 v0, -v3, v8, v12
	s_delay_alu instid0(VALU_DEP_4)
	v_fmac_f32_e32 v5, v3, v8
	ds_store_b64 v40, v[0:1] offset:6120
	ds_store_b64 v2, v[5:6] offset:8568
	global_wb scope:SCOPE_SE
	s_wait_dscnt 0x0
	s_barrier_signal -1
	s_barrier_wait -1
	global_inv scope:SCOPE_SE
	global_wb scope:SCOPE_SE
	s_barrier_signal -1
	s_barrier_wait -1
	global_inv scope:SCOPE_SE
	ds_load_2addr_b64 v[0:3], v40 offset1:108
	ds_load_2addr_b64 v[28:31], v10 offset0:88 offset1:196
	ds_load_2addr_b64 v[24:27], v11 offset0:48 offset1:156
	;; [unrolled: 1-line block ×7, first 2 shown]
	ds_load_b64 v[38:39], v40 offset:13824
	global_wb scope:SCOPE_SE
	s_wait_dscnt 0x0
	s_barrier_signal -1
	s_barrier_wait -1
	global_inv scope:SCOPE_SE
	v_cmpx_gt_u32_e32 0x6c, v32
	s_cbranch_execz .LBB0_19
; %bb.18:
	v_dual_add_f32 v79, v39, v3 :: v_dual_sub_f32 v48, v2, v38
	v_dual_add_f32 v78, v7, v29 :: v_dual_add_f32 v75, v5, v31
	v_dual_sub_f32 v44, v28, v6 :: v_dual_sub_f32 v45, v30, v4
	s_delay_alu instid0(VALU_DEP_3) | instskip(NEXT) | instid1(VALU_DEP_3)
	v_dual_mul_f32 v60, 0xbf7ba420, v79 :: v_dual_add_f32 v73, v11, v25
	v_dual_mul_f32 v61, 0x3f6eb680, v78 :: v_dual_sub_f32 v46, v26, v8
	s_delay_alu instid0(VALU_DEP_4) | instskip(NEXT) | instid1(VALU_DEP_3)
	v_mul_f32_e32 v62, 0xbf59a7d5, v75
	v_dual_fmamk_f32 v47, v48, 0x3e3c28d5, v60 :: v_dual_add_f32 v76, v15, v21
	s_delay_alu instid0(VALU_DEP_3) | instskip(SKIP_1) | instid1(VALU_DEP_3)
	v_fmamk_f32 v49, v44, 0xbeb8f4ab, v61
	v_dual_sub_f32 v43, v24, v10 :: v_dual_add_f32 v74, v9, v27
	v_dual_add_f32 v50, v1, v47 :: v_dual_sub_f32 v47, v20, v14
	v_mul_f32_e32 v63, 0x3f3d2fb0, v73
	v_fmamk_f32 v51, v45, 0x3f06c442, v62
	s_delay_alu instid0(VALU_DEP_4) | instskip(NEXT) | instid1(VALU_DEP_4)
	v_dual_sub_f32 v81, v3, v39 :: v_dual_mul_f32 v64, 0xbf1a4643, v74
	v_add_f32_e32 v50, v49, v50
	s_delay_alu instid0(VALU_DEP_4) | instskip(NEXT) | instid1(VALU_DEP_3)
	v_dual_add_f32 v49, v38, v2 :: v_dual_fmamk_f32 v52, v43, 0xbf2c7751, v63
	v_dual_mul_f32 v67, 0xbe3c28d5, v81 :: v_dual_sub_f32 v82, v29, v7
	s_delay_alu instid0(VALU_DEP_3) | instskip(SKIP_1) | instid1(VALU_DEP_3)
	v_dual_add_f32 v51, v51, v50 :: v_dual_add_f32 v50, v6, v28
	v_dual_fmamk_f32 v53, v46, 0x3f4c4adb, v64 :: v_dual_sub_f32 v84, v25, v11
	v_dual_mul_f32 v68, 0x3eb8f4ab, v82 :: v_dual_sub_f32 v83, v31, v5
	s_delay_alu instid0(VALU_DEP_3) | instskip(SKIP_2) | instid1(VALU_DEP_4)
	v_dual_add_f32 v51, v52, v51 :: v_dual_fmamk_f32 v52, v49, 0xbf7ba420, v67
	v_mul_f32_e32 v58, 0x3ee437d1, v76
	v_add_f32_e32 v80, v13, v23
	v_mul_f32_e32 v71, 0xbf06c442, v83
	s_delay_alu instid0(VALU_DEP_4) | instskip(NEXT) | instid1(VALU_DEP_4)
	v_add_f32_e32 v55, v53, v51
	v_dual_add_f32 v51, v0, v52 :: v_dual_fmamk_f32 v56, v47, 0xbf65296c, v58
	v_dual_fmamk_f32 v53, v50, 0x3f6eb680, v68 :: v_dual_add_f32 v52, v4, v30
	v_dual_mul_f32 v72, 0x3f2c7751, v84 :: v_dual_sub_f32 v85, v27, v9
	v_dual_mul_f32 v59, 0xbe8c1d8e, v80 :: v_dual_sub_f32 v86, v21, v15
	s_delay_alu instid0(VALU_DEP_3) | instskip(SKIP_1) | instid1(VALU_DEP_3)
	v_dual_add_f32 v54, v53, v51 :: v_dual_fmamk_f32 v57, v52, 0xbf59a7d5, v71
	v_dual_add_f32 v53, v10, v24 :: v_dual_add_f32 v56, v56, v55
	v_dual_sub_f32 v51, v22, v12 :: v_dual_mul_f32 v70, 0x3f65296c, v86
	s_delay_alu instid0(VALU_DEP_3) | instskip(NEXT) | instid1(VALU_DEP_3)
	v_add_f32_e32 v57, v57, v54
	v_fmamk_f32 v65, v53, 0x3f3d2fb0, v72
	v_sub_f32_e32 v87, v23, v13
	s_delay_alu instid0(VALU_DEP_4) | instskip(SKIP_2) | instid1(VALU_DEP_3)
	v_fmamk_f32 v66, v51, 0x3f763a35, v59
	v_dual_add_f32 v54, v8, v26 :: v_dual_add_f32 v77, v19, v17
	v_mul_f32_e32 v90, 0xbf59a7d5, v79
	v_dual_add_f32 v2, v0, v2 :: v_dual_add_f32 v91, v66, v56
	v_mul_f32_e32 v66, 0xbf763a35, v87
	v_dual_sub_f32 v56, v16, v18 :: v_dual_add_f32 v57, v65, v57
	v_add_f32_e32 v55, v14, v20
	s_delay_alu instid0(VALU_DEP_4) | instskip(SKIP_2) | instid1(VALU_DEP_4)
	v_add_f32_e32 v2, v2, v28
	v_dual_add_f32 v28, v18, v16 :: v_dual_mul_f32 v99, 0xbf7ee86f, v83
	v_sub_f32_e32 v105, v17, v19
	v_fmamk_f32 v89, v55, 0x3ee437d1, v70
	v_mul_f32_e32 v69, 0xbf4c4adb, v85
	v_add_f32_e32 v97, v2, v30
	v_mul_f32_e32 v30, 0x3f6eb680, v74
	v_mul_f32_e32 v108, 0x3f763a35, v82
	;; [unrolled: 1-line block ×3, first 2 shown]
	s_delay_alu instid0(VALU_DEP_4) | instskip(SKIP_2) | instid1(VALU_DEP_3)
	v_dual_fmamk_f32 v65, v54, 0xbf1a4643, v69 :: v_dual_add_f32 v24, v97, v24
	v_mul_f32_e32 v111, 0xbf06c442, v84
	v_mul_f32_e32 v119, 0xbe8c1d8e, v79
	v_dual_mul_f32 v121, 0x3f3d2fb0, v75 :: v_dual_add_f32 v88, v65, v57
	s_delay_alu instid0(VALU_DEP_4) | instskip(SKIP_2) | instid1(VALU_DEP_4)
	v_add_f32_e32 v26, v24, v26
	v_mul_f32_e32 v24, 0xbf7ba420, v76
	v_mul_f32_e32 v97, 0x3f3d2fb0, v76
	v_dual_mul_f32 v127, 0xbf4c4adb, v105 :: v_dual_add_f32 v92, v89, v88
	v_fmamk_f32 v89, v48, 0x3f06c442, v90
	v_add_f32_e32 v57, v12, v22
	v_mul_f32_e32 v88, 0x3ee437d1, v78
	v_mul_f32_e32 v103, 0xbeb8f4ab, v87
	v_dual_mul_f32 v113, 0x3dbcf732, v76 :: v_dual_mul_f32 v138, 0x3dbcf732, v79
	v_add_f32_e32 v94, v1, v89
	v_fmamk_f32 v93, v57, 0xbe8c1d8e, v66
	v_fmamk_f32 v95, v44, 0xbf65296c, v88
	v_mul_f32_e32 v89, 0x3dbcf732, v75
	v_mul_f32_e32 v117, 0xbf7ba420, v78
	;; [unrolled: 1-line block ×3, first 2 shown]
	v_add_f32_e32 v92, v93, v92
	v_add_f32_e32 v3, v1, v3
	v_dual_add_f32 v93, v95, v94 :: v_dual_fmamk_f32 v94, v45, 0x3f7ee86f, v89
	v_mul_f32_e32 v100, 0x3f4c4adb, v84
	s_delay_alu instid0(VALU_DEP_3) | instskip(SKIP_3) | instid1(VALU_DEP_4)
	v_dual_mul_f32 v132, 0xbe8c1d8e, v75 :: v_dual_add_f32 v3, v3, v29
	v_mul_f32_e32 v65, 0x3dbcf732, v77
	v_mul_f32_e32 v161, 0xbf2c7751, v81
	;; [unrolled: 1-line block ×3, first 2 shown]
	v_dual_mul_f32 v139, 0x3ee437d1, v74 :: v_dual_add_f32 v96, v3, v31
	v_mul_f32_e32 v98, 0x3f65296c, v82
	v_mul_f32_e32 v31, 0xbf1a4643, v73
	v_fmamk_f32 v137, v49, 0x3f3d2fb0, v161
	s_delay_alu instid0(VALU_DEP_4) | instskip(SKIP_2) | instid1(VALU_DEP_4)
	v_dual_mul_f32 v140, 0xbf06c442, v86 :: v_dual_add_f32 v25, v96, v25
	v_mul_f32_e32 v96, 0xbf1a4643, v79
	v_mul_f32_e32 v115, 0x3f4c4adb, v87
	v_dual_add_f32 v137, v0, v137 :: v_dual_mul_f32 v130, 0xbf59a7d5, v76
	s_delay_alu instid0(VALU_DEP_4) | instskip(SKIP_3) | instid1(VALU_DEP_4)
	v_dual_add_f32 v25, v25, v27 :: v_dual_mul_f32 v110, 0xbf1a4643, v80
	v_mul_f32_e32 v157, 0x3ee437d1, v79
	v_mul_f32_e32 v152, 0xbf65296c, v85
	v_mul_f32_e32 v153, 0x3e3c28d5, v83
	v_add_f32_e32 v21, v25, v21
	v_add_f32_e32 v25, v26, v20
	v_fmamk_f32 v3, v56, 0xbf7ee86f, v65
	v_fma_f32 v67, 0xbf7ba420, v49, -v67
	s_delay_alu instid0(VALU_DEP_4) | instskip(NEXT) | instid1(VALU_DEP_3)
	v_dual_fmac_f32 v60, 0xbe3c28d5, v48 :: v_dual_add_f32 v21, v21, v23
	v_dual_add_f32 v22, v25, v22 :: v_dual_add_f32 v3, v3, v91
	v_add_f32_e32 v91, v94, v93
	v_mul_f32_e32 v94, 0xbf06c442, v81
	v_mul_f32_e32 v104, 0xbf4c4adb, v81
	s_delay_alu instid0(VALU_DEP_4) | instskip(SKIP_3) | instid1(VALU_DEP_4)
	v_add_f32_e32 v16, v22, v16
	v_mul_f32_e32 v154, 0x3f763a35, v84
	v_mul_f32_e32 v169, 0x3ee437d1, v80
	v_fmamk_f32 v27, v49, 0xbf59a7d5, v94
	v_dual_mul_f32 v29, 0x3f7ee86f, v105 :: v_dual_add_f32 v16, v16, v18
	v_mul_f32_e32 v18, 0xbe8c1d8e, v77
	s_delay_alu instid0(VALU_DEP_3) | instskip(NEXT) | instid1(VALU_DEP_3)
	v_dual_add_f32 v17, v21, v17 :: v_dual_add_f32 v26, v0, v27
	v_fmamk_f32 v95, v28, 0x3dbcf732, v29
	s_delay_alu instid0(VALU_DEP_4) | instskip(NEXT) | instid1(VALU_DEP_3)
	v_dual_fmamk_f32 v27, v50, 0x3ee437d1, v98 :: v_dual_add_f32 v12, v16, v12
	v_add_f32_e32 v17, v17, v19
	s_delay_alu instid0(VALU_DEP_3) | instskip(NEXT) | instid1(VALU_DEP_3)
	v_dual_mul_f32 v19, 0xbe8c1d8e, v78 :: v_dual_add_f32 v2, v95, v92
	v_add_f32_e32 v23, v27, v26
	s_delay_alu instid0(VALU_DEP_4) | instskip(SKIP_4) | instid1(VALU_DEP_4)
	v_add_f32_e32 v12, v12, v14
	v_fmamk_f32 v26, v52, 0x3dbcf732, v99
	v_fmamk_f32 v92, v46, 0x3eb8f4ab, v30
	v_mul_f32_e32 v101, 0xbeb8f4ab, v85
	v_mul_f32_e32 v20, 0x3f3d2fb0, v80
	v_dual_add_f32 v8, v12, v8 :: v_dual_add_f32 v23, v26, v23
	v_fmamk_f32 v26, v53, 0xbf1a4643, v100
	v_fmamk_f32 v93, v43, 0xbf4c4adb, v31
	v_mul_f32_e32 v95, 0xbe3c28d5, v86
	s_delay_alu instid0(VALU_DEP_4)
	v_add_f32_e32 v10, v8, v10
	v_mul_f32_e32 v114, 0xbe3c28d5, v85
	v_add_f32_e32 v22, v26, v23
	v_add_f32_e32 v91, v93, v91
	v_fmamk_f32 v23, v54, 0x3f6eb680, v101
	v_fmamk_f32 v16, v55, 0xbf7ba420, v95
	v_add_f32_e32 v4, v10, v4
	v_mul_f32_e32 v26, 0x3f2c7751, v87
	s_delay_alu instid0(VALU_DEP_4) | instskip(SKIP_1) | instid1(VALU_DEP_4)
	v_dual_add_f32 v91, v92, v91 :: v_dual_add_f32 v22, v23, v22
	v_fmamk_f32 v92, v47, 0x3e3c28d5, v24
	v_dual_fmamk_f32 v27, v51, 0xbf2c7751, v20 :: v_dual_add_f32 v4, v4, v6
	v_fmamk_f32 v6, v47, 0x3f2c7751, v97
	s_delay_alu instid0(VALU_DEP_4) | instskip(NEXT) | instid1(VALU_DEP_4)
	v_add_f32_e32 v14, v16, v22
	v_dual_add_f32 v25, v92, v91 :: v_dual_mul_f32 v22, 0xbf763a35, v105
	v_add_f32_e32 v13, v17, v13
	v_fmamk_f32 v17, v48, 0x3f4c4adb, v96
	s_delay_alu instid0(VALU_DEP_3) | instskip(SKIP_1) | instid1(VALU_DEP_4)
	v_dual_fmamk_f32 v16, v44, 0xbf763a35, v19 :: v_dual_add_f32 v21, v27, v25
	v_mul_f32_e32 v27, 0x3f6eb680, v75
	v_add_f32_e32 v13, v13, v15
	s_delay_alu instid0(VALU_DEP_4) | instskip(SKIP_3) | instid1(VALU_DEP_4)
	v_add_f32_e32 v15, v1, v17
	v_mul_f32_e32 v91, 0xbf59a7d5, v73
	v_mul_f32_e32 v23, 0x3dbcf732, v74
	v_dual_add_f32 v4, v4, v38 :: v_dual_fmamk_f32 v17, v57, 0x3f3d2fb0, v26
	v_add_f32_e32 v12, v16, v15
	v_fmamk_f32 v16, v49, 0xbf1a4643, v104
	v_fmamk_f32 v8, v45, 0x3eb8f4ab, v27
	;; [unrolled: 1-line block ×3, first 2 shown]
	v_mul_f32_e32 v106, 0x3f7ee86f, v85
	v_mul_f32_e32 v92, 0xbf1a4643, v77
	s_delay_alu instid0(VALU_DEP_4) | instskip(SKIP_3) | instid1(VALU_DEP_4)
	v_dual_mul_f32 v93, 0xbe3c28d5, v87 :: v_dual_add_f32 v12, v8, v12
	v_mul_f32_e32 v25, 0x3ee437d1, v77
	v_mul_f32_e32 v133, 0xbf1a4643, v78
	v_fmac_f32_e32 v61, 0x3eb8f4ab, v44
	v_dual_add_f32 v67, v0, v67 :: v_dual_add_f32 v12, v15, v12
	v_fmamk_f32 v15, v46, 0xbf7ee86f, v23
	v_add_f32_e32 v9, v13, v9
	v_dual_add_f32 v13, v17, v14 :: v_dual_fmamk_f32 v14, v28, 0xbe8c1d8e, v22
	v_mul_f32_e32 v120, 0xbf59a7d5, v78
	s_delay_alu instid0(VALU_DEP_3) | instskip(NEXT) | instid1(VALU_DEP_3)
	v_dual_add_f32 v12, v15, v12 :: v_dual_add_f32 v11, v9, v11
	v_dual_fmamk_f32 v15, v56, 0x3f4c4adb, v92 :: v_dual_add_f32 v8, v14, v13
	v_mul_f32_e32 v122, 0x3f06c442, v82
	s_delay_alu instid0(VALU_DEP_3) | instskip(NEXT) | instid1(VALU_DEP_4)
	v_dual_add_f32 v6, v6, v12 :: v_dual_fmamk_f32 v9, v56, 0x3f763a35, v18
	v_add_f32_e32 v5, v11, v5
	v_add_f32_e32 v13, v0, v16
	v_fmamk_f32 v12, v48, 0x3f763a35, v119
	v_mul_f32_e32 v109, 0xbeb8f4ab, v83
	v_dual_add_f32 v9, v9, v21 :: v_dual_fmamk_f32 v14, v50, 0xbe8c1d8e, v108
	v_add_f32_e32 v5, v5, v7
	v_mul_f32_e32 v21, 0xbf7ba420, v80
	v_mul_f32_e32 v118, 0xbf763a35, v81
	;; [unrolled: 1-line block ×3, first 2 shown]
	v_add_f32_e32 v10, v14, v13
	v_fmamk_f32 v13, v50, 0xbf59a7d5, v122
	v_fmamk_f32 v11, v52, 0x3f6eb680, v109
	v_dual_mul_f32 v112, 0x3f65296c, v105 :: v_dual_add_f32 v5, v5, v39
	v_mul_f32_e32 v124, 0x3f2c7751, v83
	v_mul_f32_e32 v39, 0x3f3d2fb0, v77
	s_delay_alu instid0(VALU_DEP_4) | instskip(SKIP_2) | instid1(VALU_DEP_4)
	v_dual_add_f32 v7, v11, v10 :: v_dual_fmamk_f32 v10, v53, 0xbf59a7d5, v111
	v_fmamk_f32 v11, v51, 0x3e3c28d5, v21
	v_dual_mul_f32 v123, 0x3ee437d1, v73 :: v_dual_fmamk_f32 v14, v28, 0x3ee437d1, v112
	v_fmamk_f32 v17, v56, 0xbf2c7751, v39
	s_delay_alu instid0(VALU_DEP_4) | instskip(SKIP_3) | instid1(VALU_DEP_3)
	v_add_f32_e32 v7, v10, v7
	v_fmamk_f32 v10, v54, 0x3dbcf732, v106
	v_dual_add_f32 v6, v11, v6 :: v_dual_fmamk_f32 v11, v56, 0xbf65296c, v25
	v_mul_f32_e32 v102, 0x3f7ee86f, v86
	v_dual_fmamk_f32 v16, v28, 0xbf1a4643, v127 :: v_dual_add_f32 v7, v10, v7
	v_fmamk_f32 v10, v55, 0x3f3d2fb0, v107
	v_dual_mul_f32 v167, 0xbf59a7d5, v74 :: v_dual_add_f32 v60, v1, v60
	v_fmamk_f32 v171, v51, 0xbf65296c, v169
	s_delay_alu instid0(VALU_DEP_3) | instskip(SKIP_1) | instid1(VALU_DEP_4)
	v_dual_mul_f32 v116, 0x3f2c7751, v105 :: v_dual_add_f32 v7, v10, v7
	v_fmamk_f32 v10, v57, 0xbf7ba420, v93
	v_dual_add_f32 v60, v61, v60 :: v_dual_mul_f32 v163, 0x3f3d2fb0, v79
	v_mul_f32_e32 v149, 0x3f2c7751, v85
	v_mul_f32_e32 v134, 0x3f3d2fb0, v74
	s_delay_alu instid0(VALU_DEP_4)
	v_dual_add_f32 v10, v10, v7 :: v_dual_add_f32 v7, v11, v6
	v_add_f32_e32 v6, v1, v12
	v_fmamk_f32 v12, v49, 0xbe8c1d8e, v118
	v_mul_f32_e32 v136, 0x3f6eb680, v73
	v_fmamk_f32 v131, v28, 0x3f3d2fb0, v116
	v_mul_f32_e32 v158, 0xbf06c442, v105
	s_delay_alu instid0(VALU_DEP_4) | instskip(SKIP_2) | instid1(VALU_DEP_4)
	v_dual_mul_f32 v165, 0xbf1a4643, v75 :: v_dual_add_f32 v12, v0, v12
	v_mul_f32_e32 v146, 0xbf7ee86f, v81
	v_mul_f32_e32 v150, 0xbeb8f4ab, v86
	v_fmamk_f32 v141, v28, 0xbf59a7d5, v158
	s_delay_alu instid0(VALU_DEP_4)
	v_fmamk_f32 v144, v45, 0x3f4c4adb, v165
	v_dual_add_f32 v12, v13, v12 :: v_dual_fmamk_f32 v13, v52, 0x3f3d2fb0, v124
	v_fmamk_f32 v162, v46, 0xbf06c442, v167
	v_mul_f32_e32 v156, 0xbf7ee86f, v87
	v_mul_f32_e32 v168, 0xbe8c1d8e, v76
	v_fma_f32 v68, 0x3f6eb680, v50, -v68
	v_add_f32_e32 v12, v13, v12
	v_fmamk_f32 v13, v53, 0x3ee437d1, v126
	v_fmamk_f32 v11, v44, 0xbf06c442, v120
	v_mul_f32_e32 v172, 0xbeb8f4ab, v81
	v_dual_fmac_f32 v62, 0xbf06c442, v45 :: v_dual_add_f32 v67, v68, v67
	s_delay_alu instid0(VALU_DEP_4) | instskip(NEXT) | instid1(VALU_DEP_4)
	v_add_f32_e32 v12, v13, v12
	v_dual_add_f32 v6, v11, v6 :: v_dual_fmamk_f32 v11, v45, 0xbf2c7751, v121
	v_fmamk_f32 v13, v54, 0xbf7ba420, v114
	v_mul_f32_e32 v129, 0x3dbcf732, v80
	v_fma_f32 v68, 0xbf59a7d5, v52, -v71
	v_fmac_f32_e32 v88, 0x3f65296c, v44
	v_add_f32_e32 v6, v11, v6
	v_dual_fmamk_f32 v11, v43, 0x3f65296c, v123 :: v_dual_add_f32 v12, v13, v12
	v_fmamk_f32 v13, v55, 0x3dbcf732, v102
	v_mul_f32_e32 v125, 0xbf7ba420, v74
	v_fmamk_f32 v135, v51, 0x3f7ee86f, v129
	s_delay_alu instid0(VALU_DEP_4) | instskip(NEXT) | instid1(VALU_DEP_4)
	v_dual_add_f32 v6, v11, v6 :: v_dual_mul_f32 v143, 0xbe8c1d8e, v73
	v_add_f32_e32 v12, v13, v12
	v_fmamk_f32 v13, v57, 0x3f6eb680, v103
	v_fmamk_f32 v11, v46, 0x3e3c28d5, v125
	v_dual_add_f32 v67, v68, v67 :: v_dual_fmac_f32 v64, 0xbf4c4adb, v46
	v_fma_f32 v68, 0x3f3d2fb0, v53, -v72
	s_delay_alu instid0(VALU_DEP_4) | instskip(NEXT) | instid1(VALU_DEP_4)
	v_add_f32_e32 v12, v13, v12
	v_add_f32_e32 v6, v11, v6
	v_fmamk_f32 v11, v47, 0xbf7ee86f, v113
	v_fmamk_f32 v13, v44, 0x3e3c28d5, v117
	v_fmac_f32_e32 v58, 0x3f65296c, v47
	v_fmac_f32_e32 v65, 0x3f7ee86f, v56
	s_delay_alu instid0(VALU_DEP_4)
	v_dual_mul_f32 v155, 0xbf59a7d5, v77 :: v_dual_add_f32 v6, v11, v6
	v_mul_f32_e32 v38, 0x3f6eb680, v80
	v_mul_f32_e32 v160, 0xbf4c4adb, v82
	;; [unrolled: 1-line block ×3, first 2 shown]
	v_fma_f32 v26, 0x3f3d2fb0, v57, -v26
	v_fmac_f32_e32 v20, 0x3f2c7751, v51
	v_fmamk_f32 v11, v51, 0x3eb8f4ab, v38
	v_fmac_f32_e32 v63, 0x3f2c7751, v43
	v_dual_fmac_f32 v59, 0xbf763a35, v51 :: v_dual_fmac_f32 v18, 0xbf763a35, v56
	v_fma_f32 v22, 0xbe8c1d8e, v28, -v22
	s_delay_alu instid0(VALU_DEP_4)
	v_add_f32_e32 v11, v11, v6
	v_add_f32_e32 v6, v14, v10
	v_fmamk_f32 v10, v48, 0x3f7ee86f, v138
	v_fmamk_f32 v14, v49, 0x3dbcf732, v146
	v_fmac_f32_e32 v31, 0x3f4c4adb, v43
	v_mul_f32_e32 v142, 0xbf7ba420, v75
	v_mul_f32_e32 v166, 0xbf7ba420, v73
	v_add_f32_e32 v10, v1, v10
	v_dual_add_f32 v14, v0, v14 :: v_dual_mul_f32 v75, 0x3ee437d1, v75
	v_mul_f32_e32 v73, 0x3dbcf732, v73
	s_delay_alu instid0(VALU_DEP_3) | instskip(SKIP_4) | instid1(VALU_DEP_4)
	v_dual_fmac_f32 v129, 0xbf7ee86f, v51 :: v_dual_add_f32 v10, v13, v10
	v_fmamk_f32 v13, v45, 0xbf763a35, v132
	v_fma_f32 v66, 0xbe8c1d8e, v57, -v66
	v_mul_f32_e32 v128, 0x3f6eb680, v76
	v_fma_f32 v29, 0x3dbcf732, v28, -v29
	v_dual_fmac_f32 v19, 0x3f763a35, v44 :: v_dual_add_f32 v10, v13, v10
	v_fmamk_f32 v13, v43, 0xbeb8f4ab, v136
	v_fmac_f32_e32 v121, 0x3f2c7751, v45
	v_fmac_f32_e32 v27, 0xbeb8f4ab, v45
	;; [unrolled: 1-line block ×3, first 2 shown]
	s_delay_alu instid0(VALU_DEP_4) | instskip(SKIP_4) | instid1(VALU_DEP_4)
	v_dual_fmac_f32 v91, 0xbf06c442, v43 :: v_dual_add_f32 v10, v13, v10
	v_fmamk_f32 v13, v46, 0x3f65296c, v139
	v_add_f32_e32 v11, v15, v11
	v_fmac_f32_e32 v119, 0xbf763a35, v48
	v_dual_fmac_f32 v125, 0xbe3c28d5, v46 :: v_dual_fmac_f32 v24, 0xbe3c28d5, v47
	v_dual_add_f32 v10, v13, v10 :: v_dual_fmamk_f32 v13, v47, 0x3f06c442, v130
	v_mul_f32_e32 v151, 0x3eb8f4ab, v84
	v_fmamk_f32 v176, v51, 0x3f06c442, v80
	v_add_f32_e32 v60, v62, v60
	v_fmac_f32_e32 v30, 0xbeb8f4ab, v46
	v_dual_add_f32 v10, v13, v10 :: v_dual_fmamk_f32 v13, v51, 0xbf4c4adb, v110
	v_fmac_f32_e32 v90, 0xbf06c442, v48
	s_delay_alu instid0(VALU_DEP_4) | instskip(SKIP_1) | instid1(VALU_DEP_4)
	v_add_f32_e32 v63, v63, v60
	v_fmac_f32_e32 v96, 0xbf4c4adb, v48
	v_dual_fmac_f32 v120, 0x3f06c442, v44 :: v_dual_add_f32 v13, v13, v10
	v_add_f32_e32 v10, v16, v12
	v_fmamk_f32 v12, v48, 0x3f65296c, v157
	v_dual_fmamk_f32 v16, v49, 0x3ee437d1, v159 :: v_dual_add_f32 v63, v64, v63
	s_delay_alu instid0(VALU_DEP_4) | instskip(NEXT) | instid1(VALU_DEP_3)
	v_add_f32_e32 v13, v17, v13
	v_dual_fmamk_f32 v17, v50, 0xbf1a4643, v160 :: v_dual_add_f32 v12, v1, v12
	s_delay_alu instid0(VALU_DEP_3) | instskip(SKIP_2) | instid1(VALU_DEP_3)
	v_dual_mul_f32 v147, 0xbe3c28d5, v82 :: v_dual_add_f32 v16, v0, v16
	v_add_f32_e32 v64, v1, v90
	v_dual_add_f32 v58, v58, v63 :: v_dual_fmac_f32 v139, 0xbf65296c, v46
	v_dual_fmamk_f32 v15, v50, 0xbf7ba420, v147 :: v_dual_add_f32 v16, v17, v16
	v_fmamk_f32 v17, v52, 0xbf7ba420, v153
	s_delay_alu instid0(VALU_DEP_4) | instskip(NEXT) | instid1(VALU_DEP_4)
	v_add_f32_e32 v64, v88, v64
	v_add_f32_e32 v58, v59, v58
	s_delay_alu instid0(VALU_DEP_4) | instskip(NEXT) | instid1(VALU_DEP_4)
	v_dual_add_f32 v14, v15, v14 :: v_dual_fmamk_f32 v15, v52, 0xbe8c1d8e, v148
	v_add_f32_e32 v16, v17, v16
	v_fmamk_f32 v17, v53, 0xbe8c1d8e, v154
	v_fmac_f32_e32 v138, 0xbf7ee86f, v48
	v_fmac_f32_e32 v132, 0x3f763a35, v45
	v_dual_add_f32 v14, v15, v14 :: v_dual_fmamk_f32 v15, v53, 0x3f6eb680, v151
	s_delay_alu instid0(VALU_DEP_4) | instskip(SKIP_2) | instid1(VALU_DEP_4)
	v_dual_add_f32 v16, v17, v16 :: v_dual_fmamk_f32 v17, v54, 0x3f3d2fb0, v149
	v_fmac_f32_e32 v136, 0x3eb8f4ab, v43
	v_fmac_f32_e32 v92, 0xbf4c4adb, v56
	v_dual_add_f32 v14, v15, v14 :: v_dual_fmamk_f32 v15, v54, 0x3ee437d1, v152
	s_delay_alu instid0(VALU_DEP_4) | instskip(SKIP_1) | instid1(VALU_DEP_3)
	v_dual_add_f32 v16, v17, v16 :: v_dual_fmamk_f32 v17, v55, 0x3f6eb680, v150
	v_fmac_f32_e32 v80, 0xbf06c442, v51
	v_add_f32_e32 v14, v15, v14
	v_fmamk_f32 v15, v55, 0xbf59a7d5, v140
	v_fmac_f32_e32 v130, 0xbf06c442, v47
	s_delay_alu instid0(VALU_DEP_2) | instskip(SKIP_1) | instid1(VALU_DEP_2)
	v_dual_add_f32 v14, v15, v14 :: v_dual_fmamk_f32 v15, v57, 0xbf1a4643, v115
	v_fmac_f32_e32 v110, 0x3f4c4adb, v51
	v_dual_add_f32 v14, v15, v14 :: v_dual_fmamk_f32 v15, v44, 0x3f4c4adb, v133
	v_fmac_f32_e32 v133, 0xbf4c4adb, v44
	s_delay_alu instid0(VALU_DEP_2) | instskip(SKIP_3) | instid1(VALU_DEP_3)
	v_dual_fmac_f32 v123, 0xbf65296c, v43 :: v_dual_add_f32 v12, v15, v12
	v_fmamk_f32 v15, v45, 0xbe3c28d5, v142
	v_fmac_f32_e32 v142, 0x3e3c28d5, v45
	v_fmac_f32_e32 v25, 0x3f65296c, v56
	v_add_f32_e32 v12, v15, v12
	v_fmamk_f32 v15, v43, 0xbf763a35, v143
	s_delay_alu instid0(VALU_DEP_1) | instskip(SKIP_3) | instid1(VALU_DEP_4)
	v_dual_add_f32 v12, v15, v12 :: v_dual_fmamk_f32 v15, v46, 0xbf2c7751, v134
	v_fmac_f32_e32 v157, 0xbf65296c, v48
	v_fmac_f32_e32 v97, 0xbf2c7751, v47
	;; [unrolled: 1-line block ×3, first 2 shown]
	v_add_f32_e32 v12, v15, v12
	v_fmamk_f32 v15, v47, 0x3eb8f4ab, v128
	s_delay_alu instid0(VALU_DEP_1)
	v_dual_fmac_f32 v128, 0xbeb8f4ab, v47 :: v_dual_add_f32 v15, v15, v12
	v_add_f32_e32 v12, v131, v14
	v_mul_f32_e32 v131, 0xbf7ee86f, v82
	v_mul_f32_e32 v164, 0x3dbcf732, v78
	;; [unrolled: 1-line block ×3, first 2 shown]
	v_dual_add_f32 v14, v135, v15 :: v_dual_add_f32 v15, v17, v16
	v_fmamk_f32 v17, v57, 0x3dbcf732, v156
	v_fmamk_f32 v16, v48, 0x3f2c7751, v163
	s_delay_alu instid0(VALU_DEP_4) | instskip(SKIP_1) | instid1(VALU_DEP_4)
	v_fmamk_f32 v173, v50, 0x3f3d2fb0, v82
	v_fmamk_f32 v135, v44, 0x3f7ee86f, v164
	v_dual_mul_f32 v78, 0x3f3d2fb0, v78 :: v_dual_add_f32 v17, v17, v15
	s_delay_alu instid0(VALU_DEP_4) | instskip(SKIP_2) | instid1(VALU_DEP_3)
	v_dual_add_f32 v16, v1, v16 :: v_dual_fmamk_f32 v15, v56, 0x3f06c442, v155
	v_fmac_f32_e32 v143, 0x3f763a35, v43
	v_fmac_f32_e32 v113, 0x3f7ee86f, v47
	v_dual_fmac_f32 v23, 0x3f7ee86f, v46 :: v_dual_add_f32 v16, v135, v16
	v_mul_f32_e32 v135, 0xbf4c4adb, v83
	v_dual_add_f32 v15, v15, v14 :: v_dual_add_f32 v14, v141, v17
	s_delay_alu instid0(VALU_DEP_3) | instskip(SKIP_3) | instid1(VALU_DEP_4)
	v_dual_fmac_f32 v89, 0xbf7ee86f, v45 :: v_dual_add_f32 v16, v144, v16
	v_fmamk_f32 v144, v43, 0x3e3c28d5, v166
	v_mul_f32_e32 v83, 0xbf65296c, v83
	v_fmac_f32_e32 v164, 0xbf7ee86f, v44
	v_add_f32_e32 v64, v89, v64
	v_fmac_f32_e32 v166, 0xbe3c28d5, v43
	v_add_f32_e32 v16, v144, v16
	s_delay_alu instid0(VALU_DEP_3) | instskip(NEXT) | instid1(VALU_DEP_2)
	v_add_f32_e32 v31, v31, v64
	v_add_f32_e32 v16, v162, v16
	s_delay_alu instid0(VALU_DEP_2) | instskip(SKIP_2) | instid1(VALU_DEP_3)
	v_dual_fmamk_f32 v162, v47, 0xbf763a35, v168 :: v_dual_add_f32 v31, v30, v31
	v_add_f32_e32 v30, v65, v58
	v_fma_f32 v58, 0xbf7ba420, v55, -v95
	v_add_f32_e32 v16, v162, v16
	v_mul_f32_e32 v162, 0x3f6eb680, v79
	v_add_f32_e32 v24, v24, v31
	s_delay_alu instid0(VALU_DEP_2) | instskip(NEXT) | instid1(VALU_DEP_2)
	v_dual_add_f32 v16, v171, v16 :: v_dual_fmamk_f32 v171, v48, 0x3eb8f4ab, v162
	v_add_f32_e32 v20, v20, v24
	v_fmac_f32_e32 v163, 0xbf2c7751, v48
	v_fmac_f32_e32 v117, 0xbe3c28d5, v44
	s_delay_alu instid0(VALU_DEP_4) | instskip(SKIP_3) | instid1(VALU_DEP_3)
	v_dual_fmac_f32 v162, 0xbeb8f4ab, v48 :: v_dual_add_f32 v81, v1, v171
	v_fmamk_f32 v171, v44, 0x3f2c7751, v78
	v_fmac_f32_e32 v78, 0xbf2c7751, v44
	v_fma_f32 v48, 0x3dbcf732, v50, -v131
	v_add_f32_e32 v81, v171, v81
	v_fmamk_f32 v171, v45, 0x3f65296c, v75
	v_mul_f32_e32 v144, 0x3f763a35, v86
	v_mul_f32_e32 v86, 0xbf4c4adb, v86
	v_fmamk_f32 v141, v52, 0xbf1a4643, v135
	s_delay_alu instid0(VALU_DEP_4)
	v_dual_fmac_f32 v168, 0x3f763a35, v47 :: v_dual_add_f32 v81, v171, v81
	v_fmamk_f32 v171, v43, 0x3f7ee86f, v73
	v_mul_f32_e32 v74, 0xbe8c1d8e, v74
	v_fma_f32 v44, 0xbf1a4643, v52, -v135
	v_fmac_f32_e32 v39, 0x3f2c7751, v56
	v_fmac_f32_e32 v73, 0xbf7ee86f, v43
	s_delay_alu instid0(VALU_DEP_4) | instskip(SKIP_4) | instid1(VALU_DEP_4)
	v_dual_add_f32 v171, v171, v81 :: v_dual_fmamk_f32 v174, v46, 0x3f763a35, v74
	v_mul_f32_e32 v81, 0xbf1a4643, v76
	v_mul_f32_e32 v76, 0x3eb8f4ab, v105
	v_fmamk_f32 v170, v55, 0xbe8c1d8e, v144
	v_mul_f32_e32 v105, 0xbe3c28d5, v105
	v_dual_add_f32 v171, v174, v171 :: v_dual_fmamk_f32 v174, v47, 0x3f4c4adb, v81
	s_delay_alu instid0(VALU_DEP_4) | instskip(SKIP_1) | instid1(VALU_DEP_4)
	v_fmamk_f32 v175, v28, 0x3f6eb680, v76
	v_fmamk_f32 v145, v50, 0x3dbcf732, v131
	;; [unrolled: 1-line block ×3, first 2 shown]
	v_fmac_f32_e32 v75, 0xbf65296c, v45
	v_dual_add_f32 v171, v174, v171 :: v_dual_fmamk_f32 v174, v55, 0xbf1a4643, v86
	s_delay_alu instid0(VALU_DEP_4)
	v_add_f32_e32 v17, v145, v137
	v_mul_f32_e32 v137, 0xbe3c28d5, v84
	v_mul_f32_e32 v79, 0x3f6eb680, v77
	;; [unrolled: 1-line block ×3, first 2 shown]
	v_dual_mul_f32 v84, 0xbf7ee86f, v84 :: v_dual_add_f32 v171, v176, v171
	v_add_f32_e32 v17, v141, v17
	v_fmamk_f32 v145, v53, 0xbf7ba420, v137
	v_mul_f32_e32 v141, 0x3f06c442, v85
	v_dual_mul_f32 v85, 0xbf763a35, v85 :: v_dual_fmac_f32 v74, 0xbf763a35, v46
	s_delay_alu instid0(VALU_DEP_3) | instskip(NEXT) | instid1(VALU_DEP_3)
	v_add_f32_e32 v17, v145, v17
	v_fmamk_f32 v145, v54, 0xbf59a7d5, v141
	v_fma_f32 v43, 0xbf59a7d5, v54, -v141
	s_delay_alu instid0(VALU_DEP_2) | instskip(SKIP_2) | instid1(VALU_DEP_2)
	v_add_f32_e32 v17, v145, v17
	v_mul_f32_e32 v145, 0x3f65296c, v87
	v_mul_f32_e32 v87, 0xbf06c442, v87
	v_dual_add_f32 v17, v170, v17 :: v_dual_fmamk_f32 v170, v57, 0x3ee437d1, v145
	s_delay_alu instid0(VALU_DEP_1) | instskip(NEXT) | instid1(VALU_DEP_1)
	v_dual_add_f32 v170, v170, v17 :: v_dual_fmamk_f32 v17, v56, 0xbeb8f4ab, v79
	v_add_f32_e32 v17, v17, v16
	v_fmamk_f32 v16, v49, 0x3f6eb680, v172
	s_delay_alu instid0(VALU_DEP_1) | instskip(NEXT) | instid1(VALU_DEP_1)
	v_add_f32_e32 v16, v0, v16
	v_dual_add_f32 v16, v173, v16 :: v_dual_fmamk_f32 v173, v52, 0x3ee437d1, v83
	s_delay_alu instid0(VALU_DEP_1) | instskip(SKIP_1) | instid1(VALU_DEP_1)
	v_add_f32_e32 v16, v173, v16
	v_fmamk_f32 v173, v53, 0x3dbcf732, v84
	v_dual_fmac_f32 v165, 0xbf4c4adb, v45 :: v_dual_add_f32 v16, v173, v16
	v_fmamk_f32 v173, v54, 0xbe8c1d8e, v85
	s_delay_alu instid0(VALU_DEP_1) | instskip(NEXT) | instid1(VALU_DEP_1)
	v_dual_add_f32 v173, v173, v16 :: v_dual_add_f32 v16, v175, v170
	v_dual_add_f32 v170, v174, v173 :: v_dual_fmamk_f32 v173, v57, 0xbf59a7d5, v87
	s_delay_alu instid0(VALU_DEP_1) | instskip(NEXT) | instid1(VALU_DEP_1)
	v_add_f32_e32 v170, v173, v170
	v_add_f32_e32 v60, v62, v170
	;; [unrolled: 1-line block ×3, first 2 shown]
	v_fma_f32 v67, 0xbf1a4643, v54, -v69
	v_fma_f32 v68, 0xbf59a7d5, v49, -v94
	s_delay_alu instid0(VALU_DEP_2) | instskip(SKIP_1) | instid1(VALU_DEP_1)
	v_add_f32_e32 v62, v67, v62
	v_fma_f32 v67, 0x3ee437d1, v55, -v70
	v_dual_add_f32 v63, v0, v68 :: v_dual_add_f32 v62, v67, v62
	v_fma_f32 v67, 0x3ee437d1, v50, -v98
	s_delay_alu instid0(VALU_DEP_2) | instskip(NEXT) | instid1(VALU_DEP_2)
	v_add_f32_e32 v59, v66, v62
	v_add_f32_e32 v63, v67, v63
	v_fma_f32 v67, 0x3dbcf732, v52, -v99
	s_delay_alu instid0(VALU_DEP_3) | instskip(NEXT) | instid1(VALU_DEP_2)
	v_add_f32_e32 v29, v29, v59
	v_dual_add_f32 v59, v1, v96 :: v_dual_add_f32 v62, v67, v63
	v_fma_f32 v63, 0xbf1a4643, v53, -v100
	v_fmac_f32_e32 v81, 0xbf4c4adb, v47
	s_delay_alu instid0(VALU_DEP_3) | instskip(SKIP_1) | instid1(VALU_DEP_4)
	v_add_f32_e32 v19, v19, v59
	v_fma_f32 v59, 0xbe8c1d8e, v50, -v108
	v_add_f32_e32 v62, v63, v62
	v_fma_f32 v63, 0x3f6eb680, v54, -v101
	s_delay_alu instid0(VALU_DEP_4) | instskip(SKIP_1) | instid1(VALU_DEP_3)
	v_add_f32_e32 v19, v27, v19
	v_fma_f32 v27, 0x3f6eb680, v52, -v109
	v_add_f32_e32 v31, v63, v62
	v_fma_f32 v62, 0xbf1a4643, v49, -v104
	s_delay_alu instid0(VALU_DEP_1) | instskip(NEXT) | instid1(VALU_DEP_1)
	v_dual_add_f32 v31, v58, v31 :: v_dual_add_f32 v58, v0, v62
	v_add_f32_e32 v24, v26, v31
	s_delay_alu instid0(VALU_DEP_2) | instskip(SKIP_3) | instid1(VALU_DEP_4)
	v_dual_add_f32 v26, v59, v58 :: v_dual_fmamk_f32 v61, v56, 0x3e3c28d5, v77
	v_add_f32_e32 v58, v1, v163
	v_fmac_f32_e32 v38, 0xbeb8f4ab, v51
	v_add_f32_e32 v31, v91, v19
	v_add_f32_e32 v26, v27, v26
	v_fma_f32 v27, 0xbf59a7d5, v53, -v111
	v_add_f32_e32 v19, v18, v20
	v_add_f32_e32 v18, v22, v24
	;; [unrolled: 1-line block ×5, first 2 shown]
	v_fma_f32 v26, 0x3dbcf732, v54, -v106
	v_add_f32_e32 v27, v1, v119
	v_add_f32_e32 v20, v97, v20
	;; [unrolled: 1-line block ×3, first 2 shown]
	s_delay_alu instid0(VALU_DEP_4)
	v_dual_fmac_f32 v77, 0xbe3c28d5, v56 :: v_dual_add_f32 v22, v26, v23
	v_fma_f32 v23, 0x3f3d2fb0, v55, -v107
	v_add_f32_e32 v24, v120, v27
	v_fma_f32 v26, 0xbe8c1d8e, v49, -v118
	v_fma_f32 v27, 0xbf59a7d5, v50, -v122
	v_add_f32_e32 v20, v21, v20
	v_add_f32_e32 v22, v23, v22
	v_fma_f32 v23, 0xbf7ba420, v57, -v93
	v_add_f32_e32 v24, v121, v24
	v_add_f32_e32 v26, v0, v26
	s_delay_alu instid0(VALU_DEP_3) | instskip(NEXT) | instid1(VALU_DEP_3)
	v_add_f32_e32 v22, v23, v22
	v_add_f32_e32 v21, v123, v24
	s_delay_alu instid0(VALU_DEP_3) | instskip(SKIP_2) | instid1(VALU_DEP_4)
	v_add_f32_e32 v23, v27, v26
	v_fma_f32 v24, 0x3f3d2fb0, v52, -v124
	v_fma_f32 v26, 0x3ee437d1, v28, -v112
	v_add_f32_e32 v27, v125, v21
	v_add_f32_e32 v21, v25, v20
	s_delay_alu instid0(VALU_DEP_4)
	v_add_f32_e32 v23, v24, v23
	v_fma_f32 v24, 0x3ee437d1, v53, -v126
	v_add_f32_e32 v20, v26, v22
	v_add_f32_e32 v25, v1, v138
	v_fma_f32 v26, 0x3dbcf732, v49, -v146
	v_add_f32_e32 v22, v113, v27
	v_add_f32_e32 v23, v24, v23
	v_fma_f32 v24, 0xbf7ba420, v54, -v114
	s_delay_alu instid0(VALU_DEP_4) | instskip(SKIP_1) | instid1(VALU_DEP_3)
	v_dual_add_f32 v25, v117, v25 :: v_dual_add_f32 v26, v0, v26
	v_fma_f32 v27, 0xbf7ba420, v50, -v147
	v_dual_add_f32 v22, v38, v22 :: v_dual_add_f32 v23, v24, v23
	v_fma_f32 v24, 0x3dbcf732, v55, -v102
	s_delay_alu instid0(VALU_DEP_3) | instskip(SKIP_1) | instid1(VALU_DEP_3)
	v_dual_add_f32 v25, v132, v25 :: v_dual_add_f32 v26, v27, v26
	v_fma_f32 v27, 0xbe8c1d8e, v52, -v148
	v_dual_add_f32 v38, v1, v157 :: v_dual_add_f32 v23, v24, v23
	v_fma_f32 v24, 0x3f6eb680, v57, -v103
	s_delay_alu instid0(VALU_DEP_1) | instskip(SKIP_4) | instid1(VALU_DEP_4)
	v_add_f32_e32 v24, v24, v23
	v_add_f32_e32 v23, v136, v25
	;; [unrolled: 1-line block ×3, first 2 shown]
	v_fma_f32 v26, 0x3f6eb680, v53, -v151
	v_fma_f32 v27, 0xbf1a4643, v28, -v127
	v_add_f32_e32 v31, v139, v23
	v_add_f32_e32 v23, v92, v22
	s_delay_alu instid0(VALU_DEP_4) | instskip(SKIP_3) | instid1(VALU_DEP_3)
	v_add_f32_e32 v25, v26, v25
	v_fma_f32 v26, 0x3ee437d1, v54, -v152
	v_add_f32_e32 v22, v27, v24
	v_fma_f32 v24, 0x3ee437d1, v49, -v159
	;; [unrolled: 2-line block ×3, first 2 shown]
	s_delay_alu instid0(VALU_DEP_1) | instskip(SKIP_2) | instid1(VALU_DEP_2)
	v_dual_add_f32 v24, v0, v24 :: v_dual_add_f32 v25, v26, v25
	v_add_f32_e32 v26, v133, v38
	v_fma_f32 v38, 0xbf1a4643, v57, -v115
	v_add_f32_e32 v26, v142, v26
	s_delay_alu instid0(VALU_DEP_2) | instskip(SKIP_1) | instid1(VALU_DEP_1)
	v_add_f32_e32 v38, v38, v25
	v_add_f32_e32 v31, v130, v31
	;; [unrolled: 1-line block ×3, first 2 shown]
	v_fma_f32 v31, 0xbf1a4643, v50, -v160
	s_delay_alu instid0(VALU_DEP_2) | instskip(NEXT) | instid1(VALU_DEP_2)
	v_add_f32_e32 v25, v39, v27
	v_add_f32_e32 v24, v31, v24
	v_fma_f32 v31, 0xbf7ba420, v52, -v153
	v_fma_f32 v39, 0x3f6eb680, v55, -v150
	;; [unrolled: 1-line block ×3, first 2 shown]
	s_delay_alu instid0(VALU_DEP_3) | instskip(SKIP_1) | instid1(VALU_DEP_1)
	v_add_f32_e32 v24, v31, v24
	v_fma_f32 v31, 0xbe8c1d8e, v53, -v154
	v_dual_add_f32 v24, v31, v24 :: v_dual_add_f32 v31, v165, v58
	v_fma_f32 v58, 0x3f3d2fb0, v54, -v149
	s_delay_alu instid0(VALU_DEP_1) | instskip(SKIP_1) | instid1(VALU_DEP_2)
	v_add_f32_e32 v24, v58, v24
	v_fma_f32 v58, 0xbf59a7d5, v28, -v158
	v_add_f32_e32 v24, v39, v24
	v_fma_f32 v39, 0x3dbcf732, v57, -v156
	s_delay_alu instid0(VALU_DEP_1) | instskip(SKIP_2) | instid1(VALU_DEP_1)
	v_add_f32_e32 v39, v39, v24
	v_add_f32_e32 v24, v27, v38
	v_fma_f32 v38, 0x3f3d2fb0, v49, -v161
	v_add_f32_e32 v38, v0, v38
	s_delay_alu instid0(VALU_DEP_1) | instskip(SKIP_1) | instid1(VALU_DEP_2)
	v_add_f32_e32 v38, v48, v38
	v_add_f32_e32 v26, v143, v26
	;; [unrolled: 1-line block ×3, first 2 shown]
	s_delay_alu instid0(VALU_DEP_2) | instskip(SKIP_1) | instid1(VALU_DEP_2)
	v_add_f32_e32 v26, v134, v26
	v_fma_f32 v44, 0xbf7ba420, v53, -v137
	v_add_f32_e32 v26, v128, v26
	s_delay_alu instid0(VALU_DEP_2) | instskip(NEXT) | instid1(VALU_DEP_1)
	v_add_f32_e32 v38, v44, v38
	v_add_f32_e32 v38, v43, v38
	s_delay_alu instid0(VALU_DEP_3) | instskip(SKIP_1) | instid1(VALU_DEP_1)
	v_add_f32_e32 v26, v129, v26
	v_fma_f32 v43, 0xbe8c1d8e, v55, -v144
	v_dual_fmac_f32 v155, 0xbf06c442, v56 :: v_dual_add_f32 v38, v43, v38
	s_delay_alu instid0(VALU_DEP_1) | instskip(SKIP_2) | instid1(VALU_DEP_2)
	v_dual_add_f32 v27, v155, v26 :: v_dual_add_f32 v26, v58, v39
	v_fma_f32 v39, 0x3f6eb680, v49, -v172
	v_fma_f32 v43, 0x3ee437d1, v57, -v145
	v_add_f32_e32 v0, v0, v39
	v_fma_f32 v39, 0x3f3d2fb0, v50, -v82
	s_delay_alu instid0(VALU_DEP_3)
	v_add_f32_e32 v38, v43, v38
	v_fma_f32 v43, 0x3f6eb680, v28, -v76
	v_fma_f32 v28, 0xbf7ba420, v28, -v105
	v_fmac_f32_e32 v79, 0x3eb8f4ab, v56
	v_add_f32_e32 v0, v39, v0
	v_fma_f32 v39, 0x3ee437d1, v52, -v83
	s_delay_alu instid0(VALU_DEP_1) | instskip(SKIP_3) | instid1(VALU_DEP_3)
	v_dual_add_f32 v31, v166, v31 :: v_dual_add_f32 v0, v39, v0
	v_fma_f32 v39, 0x3dbcf732, v53, -v84
	v_fmac_f32_e32 v167, 0x3f06c442, v46
	v_lshl_add_u32 v46, v32, 7, v40
	v_add_f32_e32 v0, v39, v0
	s_delay_alu instid0(VALU_DEP_3) | instskip(SKIP_1) | instid1(VALU_DEP_1)
	v_add_f32_e32 v31, v167, v31
	v_fma_f32 v39, 0xbe8c1d8e, v54, -v85
	v_dual_add_f32 v31, v168, v31 :: v_dual_add_f32 v0, v39, v0
	v_fma_f32 v39, 0xbf1a4643, v55, -v86
	s_delay_alu instid0(VALU_DEP_1) | instskip(SKIP_1) | instid1(VALU_DEP_2)
	v_dual_fmac_f32 v169, 0x3f65296c, v51 :: v_dual_add_f32 v0, v39, v0
	v_fma_f32 v39, 0xbf59a7d5, v57, -v87
	v_add_f32_e32 v31, v169, v31
	s_delay_alu instid0(VALU_DEP_2) | instskip(SKIP_2) | instid1(VALU_DEP_3)
	v_add_f32_e32 v45, v39, v0
	v_add_f32_e32 v1, v1, v162
	;; [unrolled: 1-line block ×4, first 2 shown]
	s_delay_alu instid0(VALU_DEP_3) | instskip(NEXT) | instid1(VALU_DEP_1)
	v_add_f32_e32 v1, v78, v1
	v_add_f32_e32 v1, v75, v1
	s_delay_alu instid0(VALU_DEP_1) | instskip(NEXT) | instid1(VALU_DEP_1)
	v_add_f32_e32 v1, v73, v1
	v_add_f32_e32 v1, v74, v1
	s_delay_alu instid0(VALU_DEP_1) | instskip(NEXT) | instid1(VALU_DEP_1)
	v_add_f32_e32 v1, v81, v1
	v_dual_add_f32 v44, v80, v1 :: v_dual_add_f32 v1, v79, v31
	s_delay_alu instid0(VALU_DEP_1)
	v_add_f32_e32 v39, v77, v44
	ds_store_2addr_b64 v46, v[4:5], v[60:61] offset1:1
	ds_store_2addr_b64 v46, v[16:17], v[14:15] offset0:2 offset1:3
	ds_store_2addr_b64 v46, v[12:13], v[10:11] offset0:4 offset1:5
	;; [unrolled: 1-line block ×7, first 2 shown]
	ds_store_b64 v46, v[38:39] offset:128
.LBB0_19:
	s_wait_alu 0xfffe
	s_or_b32 exec_lo, exec_lo, s1
	v_and_b32_e32 v2, 0xff, v32
	v_add_nc_u32_e32 v54, 0x99, v32
	v_add_nc_u32_e32 v4, 0x132, v32
	;; [unrolled: 1-line block ×3, first 2 shown]
	global_wb scope:SCOPE_SE
	s_wait_dscnt 0x0
	v_mul_lo_u16 v0, 0xf1, v2
	v_and_b32_e32 v55, 0xffff, v54
	v_and_b32_e32 v6, 0xffff, v4
	;; [unrolled: 1-line block ×3, first 2 shown]
	s_barrier_signal -1
	v_lshrrev_b16 v56, 12, v0
	v_mul_u32_u24_e32 v0, 0xf0f1, v55
	v_mul_u32_u24_e32 v3, 0xf0f1, v6
	s_barrier_wait -1
	global_inv scope:SCOPE_SE
	v_mul_lo_u16 v1, v56, 17
	v_lshrrev_b32_e32 v57, 20, v0
	v_lshrrev_b32_e32 v58, 20, v3
	s_delay_alu instid0(VALU_DEP_3) | instskip(SKIP_1) | instid1(VALU_DEP_4)
	v_sub_nc_u16 v0, v32, v1
	v_mul_u32_u24_e32 v1, 0xf0f1, v7
	v_mul_lo_u16 v3, v57, 17
	v_mul_u32_u24_e32 v57, 0x198, v57
	s_delay_alu instid0(VALU_DEP_4) | instskip(NEXT) | instid1(VALU_DEP_4)
	v_and_b32_e32 v59, 0xff, v0
	v_lshrrev_b32_e32 v60, 20, v1
	s_delay_alu instid0(VALU_DEP_4)
	v_sub_nc_u16 v1, v54, v3
	v_mul_lo_u16 v0, v58, 17
	v_mul_u32_u24_e32 v58, 0x198, v58
	v_lshlrev_b32_e32 v3, 4, v59
	v_mul_lo_u16 v12, v60, 17
	v_and_b32_e32 v61, 0xffff, v1
	v_sub_nc_u16 v0, v4, v0
	v_lshlrev_b32_e32 v59, 3, v59
	global_load_b128 v[8:11], v3, s[4:5]
	v_sub_nc_u16 v1, v5, v12
	v_mul_u32_u24_e32 v60, 0x198, v60
	v_and_b32_e32 v62, 0xffff, v0
	v_lshlrev_b32_e32 v0, 4, v61
	s_delay_alu instid0(VALU_DEP_4) | instskip(NEXT) | instid1(VALU_DEP_3)
	v_and_b32_e32 v63, 0xffff, v1
	v_lshlrev_b32_e32 v1, 4, v62
	global_load_b128 v[12:15], v0, s[4:5]
	v_lshlrev_b32_e32 v0, 4, v63
	s_clause 0x1
	global_load_b128 v[16:19], v1, s[4:5]
	global_load_b128 v[20:23], v0, s[4:5]
	ds_load_2addr_b64 v[24:27], v40 offset1:153
	ds_load_2addr_b64 v[28:31], v33 offset0:100 offset1:253
	ds_load_2addr_b64 v[42:45], v42 offset0:47 offset1:200
	v_and_b32_e32 v56, 0xffff, v56
	v_add_nc_u32_e32 v0, 0x800, v40
	s_delay_alu instid0(VALU_DEP_2) | instskip(NEXT) | instid1(VALU_DEP_1)
	v_mul_u32_u24_e32 v56, 0x198, v56
	v_add3_u32 v56, 0, v56, v59
	v_lshlrev_b32_e32 v59, 3, v61
	v_lshlrev_b32_e32 v61, 3, v62
	s_delay_alu instid0(VALU_DEP_2) | instskip(NEXT) | instid1(VALU_DEP_2)
	v_add3_u32 v57, 0, v57, v59
	v_add3_u32 v58, 0, v58, v61
	s_wait_loadcnt_dscnt 0x301
	v_mul_f32_e32 v59, v9, v29
	v_mul_f32_e32 v9, v9, v28
	s_wait_dscnt 0x0
	v_mul_f32_e32 v61, v11, v45
	v_mul_f32_e32 v11, v11, v44
	v_mul_lo_u16 v64, 0xa1, v2
	v_fmac_f32_e32 v59, v8, v28
	v_fma_f32 v8, v8, v29, -v9
	v_fmac_f32_e32 v61, v10, v44
	v_fma_f32 v9, v10, v45, -v11
	v_add_nc_u32_e32 v1, 0x1c00, v40
	ds_load_2addr_b64 v[46:49], v41 offset0:97 offset1:250
	ds_load_b64 v[2:3], v40 offset:13464
	ds_load_2addr_b64 v[50:53], v0 offset0:50 offset1:203
	ds_load_2addr_b32 v[38:39], v1 offset0:44 offset1:45
	v_lshrrev_b16 v41, 13, v64
	s_wait_loadcnt 0x2
	v_mul_f32_e32 v10, v13, v31
	v_mul_u32_u24_e32 v55, 0xa0a1, v55
	s_wait_loadcnt 0x0
	v_dual_mul_f32 v11, v13, v30 :: v_dual_mul_f32 v44, v43, v21
	v_mul_lo_u16 v66, v41, 51
	global_wb scope:SCOPE_SE
	s_wait_dscnt 0x0
	s_barrier_signal -1
	v_fma_f32 v11, v12, v31, -v11
	s_barrier_wait -1
	v_sub_nc_u16 v66, v32, v66
	global_inv scope:SCOPE_SE
	v_lshrrev_b32_e32 v55, 21, v55
	v_fmac_f32_e32 v10, v12, v30
	v_mul_u32_u24_e32 v65, 0xa0a1, v7
	v_dual_mul_f32 v29, v49, v19 :: v_dual_and_b32 v66, 0xff, v66
	v_mul_f32_e32 v13, v15, v47
	v_mul_u32_u24_e32 v64, 0xa0a1, v6
	v_mul_f32_e32 v28, v39, v17
	v_mul_lo_u16 v67, v55, 51
	v_mul_f32_e32 v15, v15, v46
	v_mul_f32_e32 v17, v17, v38
	v_fmac_f32_e32 v29, v48, v18
	v_fmac_f32_e32 v28, v16, v38
	v_sub_nc_u16 v54, v54, v67
	v_mul_f32_e32 v45, v3, v23
	v_lshrrev_b32_e32 v64, 21, v64
	v_lshrrev_b32_e32 v65, 21, v65
	s_delay_alu instid0(VALU_DEP_4)
	v_dual_mul_f32 v21, v42, v21 :: v_dual_and_b32 v54, 0xffff, v54
	v_mul_f32_e32 v19, v48, v19
	v_fma_f32 v12, v39, v16, -v17
	v_fmac_f32_e32 v13, v14, v46
	v_fma_f32 v14, v14, v47, -v15
	v_dual_fmac_f32 v44, v42, v20 :: v_dual_sub_f32 v17, v8, v9
	v_dual_add_f32 v30, v50, v28 :: v_dual_add_f32 v31, v28, v29
	v_dual_sub_f32 v28, v28, v29 :: v_dual_fmac_f32 v45, v2, v22
	v_mul_f32_e32 v23, v2, v23
	v_add_f32_e32 v2, v24, v59
	v_lshlrev_b32_e32 v62, 3, v63
	v_mul_lo_u16 v68, v64, 51
	v_mul_lo_u16 v69, v65, 51
	v_fma_f32 v15, v49, v18, -v19
	v_fma_f32 v16, v43, v20, -v21
	v_add_f32_e32 v18, v25, v8
	v_add_f32_e32 v20, v8, v9
	;; [unrolled: 1-line block ×3, first 2 shown]
	v_fma_f32 v19, v3, v22, -v23
	v_sub_f32_e32 v22, v11, v14
	v_add_f32_e32 v3, v59, v61
	v_mul_u32_u24_e32 v6, 0x358b, v6
	v_sub_nc_u16 v67, v4, v68
	v_sub_nc_u16 v68, v5, v69
	v_dual_sub_f32 v38, v12, v15 :: v_dual_lshlrev_b32 v63, 4, v54
	v_fma_f32 v8, -0.5, v3, v24
	v_dual_add_f32 v42, v12, v15 :: v_dual_lshlrev_b32 v69, 4, v66
	v_dual_add_f32 v48, v53, v16 :: v_dual_sub_f32 v47, v16, v19
	v_add_f32_e32 v49, v16, v19
	v_fma_f32 v16, -0.5, v31, v50
	v_add_f32_e32 v3, v18, v9
	v_fma_f32 v9, -0.5, v20, v25
	v_add_f32_e32 v20, v10, v13
	v_lshrrev_b32_e32 v6, 21, v6
	v_dual_add_f32 v18, v26, v10 :: v_dual_and_b32 v67, 0xffff, v67
	v_add_f32_e32 v24, v11, v14
	s_delay_alu instid0(VALU_DEP_4) | instskip(NEXT) | instid1(VALU_DEP_4)
	v_fma_f32 v26, -0.5, v20, v26
	v_mul_lo_u16 v6, 0x99, v6
	v_sub_f32_e32 v21, v59, v61
	v_add_f32_e32 v43, v52, v44
	v_fma_f32 v52, -0.5, v46, v52
	v_sub_f32_e32 v25, v10, v13
	v_fmamk_f32 v20, v22, 0xbf5db3d7, v26
	v_dual_fmac_f32 v26, 0x3f5db3d7, v22 :: v_dual_add_f32 v39, v51, v12
	v_fmamk_f32 v10, v17, 0xbf5db3d7, v8
	v_dual_fmac_f32 v8, 0x3f5db3d7, v17 :: v_dual_add_f32 v23, v27, v11
	v_sub_f32_e32 v44, v44, v45
	v_fma_f32 v17, -0.5, v42, v51
	v_sub_nc_u16 v4, v4, v6
	v_dual_fmac_f32 v27, -0.5, v24 :: v_dual_add_f32 v2, v2, v61
	v_dual_add_f32 v12, v18, v13 :: v_dual_add_f32 v13, v23, v14
	v_add_f32_e32 v18, v43, v45
	v_dual_fmac_f32 v53, -0.5, v49 :: v_dual_fmamk_f32 v22, v38, 0xbf5db3d7, v16
	v_fmamk_f32 v11, v21, 0x3f5db3d7, v9
	v_fmamk_f32 v23, v28, 0x3f5db3d7, v17
	v_fmac_f32_e32 v17, 0xbf5db3d7, v28
	v_and_b32_e32 v28, 0xffff, v68
	v_add_co_u32 v49, s0, s4, v36
	v_and_b32_e32 v36, 0xffff, v4
	v_fmac_f32_e32 v9, 0xbf5db3d7, v21
	v_add_f32_e32 v14, v30, v29
	v_fmamk_f32 v24, v47, 0xbf5db3d7, v52
	v_dual_fmamk_f32 v21, v25, 0x3f5db3d7, v27 :: v_dual_lshlrev_b32 v46, 3, v28
	v_fmac_f32_e32 v27, 0xbf5db3d7, v25
	v_add_f32_e32 v15, v39, v15
	v_add3_u32 v60, 0, v60, v62
	v_dual_add_f32 v19, v48, v19 :: v_dual_fmac_f32 v16, 0x3f5db3d7, v38
	v_dual_fmac_f32 v52, 0x3f5db3d7, v47 :: v_dual_fmamk_f32 v25, v44, 0x3f5db3d7, v53
	v_dual_fmac_f32 v53, 0xbf5db3d7, v44 :: v_dual_lshlrev_b32 v44, 3, v54
	v_lshlrev_b32_e32 v54, 3, v36
	ds_store_2addr_b64 v56, v[2:3], v[10:11] offset1:17
	ds_store_b64 v56, v[8:9] offset:272
	ds_store_2addr_b64 v57, v[12:13], v[20:21] offset1:17
	ds_store_b64 v57, v[26:27] offset:272
	ds_store_2addr_b64 v58, v[14:15], v[22:23] offset1:17
	ds_store_b64 v58, v[16:17] offset:272
	ds_store_2addr_b64 v60, v[18:19], v[24:25] offset1:17
	ds_store_b64 v60, v[52:53] offset:272
	global_wb scope:SCOPE_SE
	s_wait_dscnt 0x0
	s_barrier_signal -1
	s_barrier_wait -1
	global_inv scope:SCOPE_SE
	s_clause 0x1
	global_load_b128 v[8:11], v69, s[4:5] offset:272
	global_load_b128 v[12:15], v63, s[4:5] offset:272
	v_lshlrev_b32_e32 v2, 4, v67
	v_lshlrev_b32_e32 v3, 4, v28
	s_clause 0x1
	global_load_b128 v[16:19], v2, s[4:5] offset:272
	global_load_b128 v[20:23], v3, s[4:5] offset:272
	v_mul_u32_u24_e32 v7, 0x358b, v7
	v_add_nc_u32_e32 v2, 0x2e00, v40
	s_wait_alu 0xf1ff
	v_add_co_ci_u32_e64 v50, s0, s5, v37, s0
	v_add_nc_u32_e32 v24, 0x264, v32
	v_lshrrev_b32_e32 v7, 21, v7
	ds_load_2addr_b64 v[36:39], v2 offset0:58 offset1:211
	v_mul_u32_u24_e32 v43, 0x4c8, v65
	v_mul_u32_u24_e32 v42, 0x4c8, v64
	v_and_b32_e32 v26, 0xffff, v24
	v_mul_lo_u16 v7, 0x99, v7
	s_delay_alu instid0(VALU_DEP_4) | instskip(NEXT) | instid1(VALU_DEP_3)
	v_add3_u32 v58, 0, v43, v46
	v_mul_u32_u24_e32 v26, 0x358b, v26
	s_delay_alu instid0(VALU_DEP_3) | instskip(NEXT) | instid1(VALU_DEP_2)
	v_sub_nc_u16 v5, v5, v7
	v_lshrrev_b32_e32 v26, 21, v26
	s_delay_alu instid0(VALU_DEP_2) | instskip(SKIP_2) | instid1(VALU_DEP_1)
	v_and_b32_e32 v51, 0xffff, v5
	ds_load_2addr_b64 v[4:7], v33 offset0:100 offset1:253
	v_mul_lo_u16 v26, 0x99, v26
	v_sub_nc_u16 v24, v24, v26
	s_wait_loadcnt_dscnt 0x300
	s_delay_alu instid0(VALU_DEP_1)
	v_dual_mul_f32 v59, v9, v5 :: v_dual_and_b32 v52, 0xffff, v24
	s_wait_loadcnt 0x2
	v_mul_f32_e32 v61, v13, v7
	v_mul_f32_e32 v9, v9, v4
	;; [unrolled: 1-line block ×3, first 2 shown]
	v_fmac_f32_e32 v59, v8, v4
	v_add_nc_u32_e32 v3, 0x2400, v40
	s_delay_alu instid0(VALU_DEP_4)
	v_fma_f32 v4, v8, v5, -v9
	s_wait_loadcnt 0x0
	v_dual_mul_f32 v66, v39, v23 :: v_dual_lshlrev_b32 v31, 3, v66
	v_add_nc_u32_e32 v25, 0x2fd, v32
	v_mul_f32_e32 v23, v38, v23
	v_fmac_f32_e32 v61, v12, v6
	v_fma_f32 v6, v12, v7, -v13
	s_delay_alu instid0(VALU_DEP_4) | instskip(SKIP_1) | instid1(VALU_DEP_2)
	v_dual_fmac_f32 v66, v38, v22 :: v_dual_and_b32 v27, 0xffff, v25
	v_mul_f32_e32 v64, v37, v19
	v_mul_u32_u24_e32 v27, 0x358b, v27
	s_delay_alu instid0(VALU_DEP_2) | instskip(NEXT) | instid1(VALU_DEP_2)
	v_fmac_f32_e32 v64, v36, v18
	v_lshrrev_b32_e32 v27, 21, v27
	s_delay_alu instid0(VALU_DEP_1) | instskip(NEXT) | instid1(VALU_DEP_1)
	v_mul_lo_u16 v27, 0x99, v27
	v_sub_nc_u16 v30, v25, v27
	ds_load_2addr_b64 v[24:27], v3 offset0:72 offset1:225
	s_wait_dscnt 0x0
	v_dual_mul_f32 v60, v11, v25 :: v_dual_and_b32 v53, 0xffff, v30
	v_mul_f32_e32 v62, v15, v27
	s_delay_alu instid0(VALU_DEP_2) | instskip(SKIP_1) | instid1(VALU_DEP_2)
	v_dual_mul_f32 v15, v15, v26 :: v_dual_fmac_f32 v60, v10, v24
	v_and_b32_e32 v29, 0xffff, v41
	v_fma_f32 v9, v14, v27, -v15
	v_mul_f32_e32 v11, v11, v24
	v_fma_f32 v15, v39, v22, -v23
	v_add_f32_e32 v12, v59, v60
	v_mul_u32_u24_e32 v29, 0x4c8, v29
	v_add_f32_e32 v22, v6, v9
	v_fma_f32 v5, v10, v25, -v11
	v_mul_u32_u24_e32 v41, 0x4c8, v55
	v_dual_fmac_f32 v62, v14, v26 :: v_dual_lshlrev_b32 v45, 3, v67
	s_delay_alu instid0(VALU_DEP_3)
	v_add_f32_e32 v14, v4, v5
	v_add3_u32 v55, 0, v29, v31
	ds_load_2addr_b64 v[28:31], v1 offset0:22 offset1:175
	v_add3_u32 v56, 0, v41, v44
	s_wait_dscnt 0x0
	v_mul_f32_e32 v65, v31, v21
	v_mul_f32_e32 v21, v30, v21
	s_delay_alu instid0(VALU_DEP_1) | instskip(NEXT) | instid1(VALU_DEP_1)
	v_fma_f32 v8, v31, v20, -v21
	v_dual_mul_f32 v63, v17, v29 :: v_dual_add_f32 v38, v8, v15
	s_delay_alu instid0(VALU_DEP_4)
	v_fmac_f32_e32 v65, v30, v20
	v_sub_f32_e32 v20, v6, v9
	v_add3_u32 v57, 0, v42, v45
	ds_load_2addr_b64 v[41:44], v40 offset1:153
	ds_load_2addr_b64 v[45:48], v0 offset0:50 offset1:203
	v_mul_f32_e32 v17, v17, v28
	global_wb scope:SCOPE_SE
	s_wait_dscnt 0x0
	s_barrier_signal -1
	s_barrier_wait -1
	global_inv scope:SCOPE_SE
	v_add_f32_e32 v10, v41, v59
	v_dual_add_f32 v30, v47, v65 :: v_dual_mul_f32 v19, v36, v19
	v_fma_f32 v7, v16, v29, -v17
	v_add_f32_e32 v21, v44, v6
	v_sub_f32_e32 v36, v8, v15
	v_dual_fmac_f32 v63, v16, v28 :: v_dual_add_f32 v16, v43, v61
	v_fma_f32 v6, -0.5, v12, v41
	v_dual_fmac_f32 v44, -0.5, v22 :: v_dual_sub_f32 v17, v4, v5
	v_add_f32_e32 v13, v42, v4
	v_add_f32_e32 v4, v10, v60
	v_fma_f32 v11, v37, v18, -v19
	v_add_f32_e32 v37, v48, v8
	v_add_f32_e32 v8, v16, v62
	v_fmac_f32_e32 v48, -0.5, v38
	v_add_f32_e32 v24, v45, v63
	v_fmamk_f32 v16, v17, 0xbf5db3d7, v6
	v_add_f32_e32 v19, v61, v62
	v_dual_sub_f32 v23, v61, v62 :: v_dual_sub_f32 v26, v7, v11
	v_add_f32_e32 v25, v63, v64
	v_add_f32_e32 v27, v46, v7
	;; [unrolled: 1-line block ×3, first 2 shown]
	v_fma_f32 v7, -0.5, v14, v42
	v_add_f32_e32 v10, v24, v64
	v_fma_f32 v43, -0.5, v19, v43
	v_add_f32_e32 v14, v30, v66
	v_sub_f32_e32 v18, v59, v60
	v_fmamk_f32 v19, v23, 0x3f5db3d7, v44
	v_fmac_f32_e32 v44, 0xbf5db3d7, v23
	v_dual_fmac_f32 v6, 0x3f5db3d7, v17 :: v_dual_add_f32 v31, v65, v66
	v_fma_f32 v12, -0.5, v25, v45
	v_sub_f32_e32 v39, v65, v66
	v_sub_f32_e32 v29, v63, v64
	v_fmamk_f32 v17, v18, 0x3f5db3d7, v7
	v_fmac_f32_e32 v7, 0xbf5db3d7, v18
	v_dual_fmamk_f32 v18, v20, 0xbf5db3d7, v43 :: v_dual_add_f32 v5, v13, v5
	v_fma_f32 v13, -0.5, v28, v46
	v_fma_f32 v47, -0.5, v31, v47
	v_fmac_f32_e32 v43, 0x3f5db3d7, v20
	v_dual_fmamk_f32 v20, v26, 0xbf5db3d7, v12 :: v_dual_add_f32 v9, v21, v9
	v_dual_add_f32 v11, v27, v11 :: v_dual_fmac_f32 v12, 0x3f5db3d7, v26
	v_fmamk_f32 v23, v39, 0x3f5db3d7, v48
	v_fmac_f32_e32 v48, 0xbf5db3d7, v39
	v_fmamk_f32 v21, v29, 0x3f5db3d7, v13
	v_add_f32_e32 v15, v37, v15
	v_fmac_f32_e32 v13, 0xbf5db3d7, v29
	v_fmamk_f32 v22, v36, 0xbf5db3d7, v47
	v_fmac_f32_e32 v47, 0x3f5db3d7, v36
	ds_store_2addr_b64 v55, v[4:5], v[16:17] offset1:51
	ds_store_b64 v55, v[6:7] offset:816
	ds_store_2addr_b64 v56, v[8:9], v[18:19] offset1:51
	ds_store_b64 v56, v[43:44] offset:816
	;; [unrolled: 2-line block ×4, first 2 shown]
	v_lshlrev_b32_e32 v12, 3, v51
	v_lshlrev_b32_e32 v13, 3, v52
	;; [unrolled: 1-line block ×3, first 2 shown]
	global_wb scope:SCOPE_SE
	s_wait_dscnt 0x0
	s_barrier_signal -1
	s_barrier_wait -1
	global_inv scope:SCOPE_SE
	s_clause 0x4
	global_load_b64 v[28:29], v[49:50], off offset:1088
	global_load_b64 v[30:31], v54, s[4:5] offset:1088
	global_load_b64 v[36:37], v12, s[4:5] offset:1088
	;; [unrolled: 1-line block ×4, first 2 shown]
	v_mul_u32_u24_e32 v8, 5, v32
	v_add_nc_u32_e32 v17, 0, v12
	v_add_nc_u32_e32 v18, 0, v13
	ds_load_2addr_b64 v[4:7], v1 offset0:22 offset1:175
	v_add_nc_u32_e32 v16, 0, v54
	v_lshlrev_b32_e32 v43, 3, v8
	ds_load_2addr_b64 v[8:11], v3 offset0:72 offset1:225
	v_add_nc_u32_e32 v46, 0x2400, v18
	v_add_nc_u32_e32 v44, 0x1000, v16
	s_wait_loadcnt_dscnt 0x401
	v_mul_f32_e32 v48, v29, v5
	s_wait_loadcnt_dscnt 0x200
	v_mul_f32_e32 v52, v37, v11
	v_mul_f32_e32 v49, v29, v4
	;; [unrolled: 1-line block ×4, first 2 shown]
	s_delay_alu instid0(VALU_DEP_4)
	v_dual_mul_f32 v51, v31, v9 :: v_dual_fmac_f32 v52, v36, v10
	v_add_nc_u32_e32 v19, 0, v14
	ds_load_2addr_b64 v[12:15], v2 offset0:58 offset1:211
	v_mul_f32_e32 v31, v31, v8
	v_dual_mul_f32 v37, v37, v10 :: v_dual_fmac_f32 v48, v28, v4
	v_add_nc_u32_e32 v47, 0x2e00, v19
	v_fma_f32 v5, v28, v5, -v49
	v_fmac_f32_e32 v50, v28, v6
	v_fma_f32 v7, v28, v7, -v29
	v_fmac_f32_e32 v51, v30, v8
	v_fma_f32 v9, v30, v9, -v31
	v_fma_f32 v11, v36, v11, -v37
	s_wait_loadcnt_dscnt 0x0
	v_mul_f32_e32 v54, v15, v42
	v_mul_f32_e32 v53, v39, v13
	v_dual_mul_f32 v39, v39, v12 :: v_dual_mul_f32 v42, v14, v42
	s_delay_alu instid0(VALU_DEP_3)
	v_fmac_f32_e32 v54, v14, v41
	v_add_nc_u32_e32 v45, 0x1c00, v17
	ds_load_2addr_b64 v[16:19], v40 offset1:153
	ds_load_2addr_b64 v[20:23], v0 offset0:50 offset1:203
	ds_load_2addr_b64 v[24:27], v33 offset0:100 offset1:253
	v_fmac_f32_e32 v53, v38, v12
	v_fma_f32 v13, v38, v13, -v39
	v_fma_f32 v15, v15, v41, -v42
	global_wb scope:SCOPE_SE
	s_wait_dscnt 0x0
	s_barrier_signal -1
	s_barrier_wait -1
	global_inv scope:SCOPE_SE
	v_dual_sub_f32 v4, v16, v48 :: v_dual_sub_f32 v5, v17, v5
	v_dual_sub_f32 v6, v18, v50 :: v_dual_sub_f32 v7, v19, v7
	;; [unrolled: 1-line block ×4, first 2 shown]
	v_sub_f32_e32 v12, v24, v53
	v_dual_sub_f32 v13, v25, v13 :: v_dual_sub_f32 v14, v26, v54
	v_sub_f32_e32 v15, v27, v15
	v_fma_f32 v16, v16, 2.0, -v4
	v_fma_f32 v17, v17, 2.0, -v5
	;; [unrolled: 1-line block ×12, first 2 shown]
	ds_store_2addr_b64 v40, v[16:17], v[4:5] offset1:153
	ds_store_2addr_b64 v0, v[18:19], v[6:7] offset0:50 offset1:203
	ds_store_2addr_b64 v44, v[20:21], v[8:9] offset0:100 offset1:253
	;; [unrolled: 1-line block ×5, first 2 shown]
	global_wb scope:SCOPE_SE
	s_wait_dscnt 0x0
	s_barrier_signal -1
	s_barrier_wait -1
	global_inv scope:SCOPE_SE
	s_clause 0x5
	global_load_b128 v[4:7], v43, s[4:5] offset:2312
	global_load_b128 v[8:11], v43, s[4:5] offset:2328
	global_load_b64 v[49:50], v43, s[4:5] offset:2344
	global_load_b128 v[12:15], v43, s[4:5] offset:8432
	global_load_b128 v[16:19], v43, s[4:5] offset:8448
	global_load_b64 v[51:52], v43, s[4:5] offset:8464
	ds_load_2addr_b64 v[20:23], v0 offset0:50 offset1:203
	ds_load_2addr_b64 v[24:27], v33 offset0:100 offset1:253
	;; [unrolled: 1-line block ×5, first 2 shown]
	ds_load_2addr_b64 v[45:48], v40 offset1:153
	global_wb scope:SCOPE_SE
	s_wait_loadcnt_dscnt 0x0
	s_barrier_signal -1
	s_barrier_wait -1
	global_inv scope:SCOPE_SE
	v_mul_f32_e32 v54, v7, v25
	v_mul_f32_e32 v55, v9, v29
	;; [unrolled: 1-line block ×7, first 2 shown]
	s_delay_alu instid0(VALU_DEP_4) | instskip(NEXT) | instid1(VALU_DEP_3)
	v_dual_mul_f32 v56, v11, v37 :: v_dual_fmac_f32 v59, v26, v14
	v_dual_mul_f32 v53, v5, v21 :: v_dual_fmac_f32 v62, v43, v51
	v_mul_f32_e32 v61, v39, v19
	v_mul_f32_e32 v5, v5, v20
	v_fmac_f32_e32 v60, v30, v16
	v_mul_f32_e32 v11, v11, v36
	v_mul_f32_e32 v17, v30, v17
	v_fmac_f32_e32 v61, v38, v18
	v_mul_f32_e32 v9, v9, v28
	v_fmac_f32_e32 v54, v6, v24
	v_fmac_f32_e32 v55, v8, v28
	;; [unrolled: 1-line block ×3, first 2 shown]
	v_add_f32_e32 v24, v47, v59
	v_sub_f32_e32 v28, v59, v61
	v_add_f32_e32 v30, v60, v62
	v_fmac_f32_e32 v53, v4, v20
	v_fma_f32 v20, v4, v21, -v5
	v_fma_f32 v5, v8, v29, -v9
	v_dual_mul_f32 v13, v22, v13 :: v_dual_mul_f32 v52, v43, v52
	v_fma_f32 v9, v31, v16, -v17
	v_fmac_f32_e32 v56, v10, v36
	s_delay_alu instid0(VALU_DEP_4) | instskip(SKIP_4) | instid1(VALU_DEP_4)
	v_add_f32_e32 v22, v20, v5
	v_fma_f32 v4, v6, v25, -v7
	v_fma_f32 v6, v10, v37, -v11
	;; [unrolled: 1-line block ×3, first 2 shown]
	v_mul_f32_e32 v19, v38, v19
	v_dual_sub_f32 v37, v60, v62 :: v_dual_add_f32 v16, v46, v4
	v_add_f32_e32 v29, v58, v60
	s_delay_alu instid0(VALU_DEP_4) | instskip(NEXT) | instid1(VALU_DEP_4)
	v_sub_f32_e32 v31, v9, v11
	v_fma_f32 v10, v39, v18, -v19
	v_fmac_f32_e32 v58, -0.5, v30
	v_add_f32_e32 v16, v16, v6
	v_fma_f32 v12, v23, v12, -v13
	v_mul_f32_e32 v57, v50, v42
	v_mul_f32_e32 v50, v50, v41
	s_delay_alu instid0(VALU_DEP_3) | instskip(NEXT) | instid1(VALU_DEP_2)
	v_dual_add_f32 v36, v12, v9 :: v_dual_add_f32 v9, v9, v11
	v_fma_f32 v7, v49, v42, -v50
	s_delay_alu instid0(VALU_DEP_1) | instskip(SKIP_3) | instid1(VALU_DEP_3)
	v_dual_fmac_f32 v12, -0.5, v9 :: v_dual_sub_f32 v21, v5, v7
	v_add_f32_e32 v5, v5, v7
	v_mul_f32_e32 v15, v26, v15
	v_add_f32_e32 v18, v53, v55
	v_dual_add_f32 v7, v22, v7 :: v_dual_fmac_f32 v20, -0.5, v5
	s_delay_alu instid0(VALU_DEP_3) | instskip(NEXT) | instid1(VALU_DEP_2)
	v_fma_f32 v8, v27, v14, -v15
	v_dual_add_f32 v14, v54, v56 :: v_dual_add_f32 v5, v16, v7
	v_dual_sub_f32 v7, v16, v7 :: v_dual_fmamk_f32 v16, v37, 0x3f5db3d7, v12
	s_delay_alu instid0(VALU_DEP_3) | instskip(SKIP_3) | instid1(VALU_DEP_2)
	v_sub_f32_e32 v26, v8, v10
	v_add_f32_e32 v27, v48, v8
	v_add_f32_e32 v8, v8, v10
	v_fma_f32 v14, -0.5, v14, v45
	v_dual_fmac_f32 v48, -0.5, v8 :: v_dual_sub_f32 v15, v4, v6
	v_dual_fmac_f32 v57, v49, v41 :: v_dual_add_f32 v4, v4, v6
	s_delay_alu instid0(VALU_DEP_1) | instskip(SKIP_1) | instid1(VALU_DEP_3)
	v_add_f32_e32 v6, v18, v57
	v_sub_f32_e32 v17, v54, v56
	v_fma_f32 v38, -0.5, v4, v46
	v_add_f32_e32 v18, v24, v61
	v_fmamk_f32 v24, v15, 0xbf5db3d7, v14
	v_dual_add_f32 v19, v55, v57 :: v_dual_fmac_f32 v14, 0x3f5db3d7, v15
	s_delay_alu instid0(VALU_DEP_4) | instskip(SKIP_2) | instid1(VALU_DEP_4)
	v_fmamk_f32 v15, v17, 0x3f5db3d7, v38
	v_fmac_f32_e32 v38, 0xbf5db3d7, v17
	v_add_f32_e32 v25, v59, v61
	v_fmac_f32_e32 v53, -0.5, v19
	v_add_f32_e32 v19, v27, v10
	v_add_f32_e32 v10, v29, v62
	s_delay_alu instid0(VALU_DEP_4) | instskip(SKIP_2) | instid1(VALU_DEP_4)
	v_fma_f32 v22, -0.5, v25, v47
	v_fmamk_f32 v25, v28, 0x3f5db3d7, v48
	v_fmac_f32_e32 v48, 0xbf5db3d7, v28
	v_add_f32_e32 v8, v18, v10
	v_dual_sub_f32 v10, v18, v10 :: v_dual_sub_f32 v23, v55, v57
	v_dual_add_f32 v13, v45, v54 :: v_dual_mul_f32 v28, 0.5, v16
	v_fmamk_f32 v17, v21, 0xbf5db3d7, v53
	v_fmac_f32_e32 v53, 0x3f5db3d7, v21
	s_delay_alu instid0(VALU_DEP_4)
	v_fmamk_f32 v21, v23, 0x3f5db3d7, v20
	v_fmac_f32_e32 v20, 0xbf5db3d7, v23
	v_fmamk_f32 v23, v26, 0xbf5db3d7, v22
	v_fmac_f32_e32 v22, 0x3f5db3d7, v26
	v_mul_f32_e32 v26, 0xbf5db3d7, v16
	v_dual_mul_f32 v18, 0xbf5db3d7, v21 :: v_dual_add_f32 v13, v13, v56
	v_fmac_f32_e32 v12, 0xbf5db3d7, v37
	s_delay_alu instid0(VALU_DEP_2) | instskip(NEXT) | instid1(VALU_DEP_3)
	v_fmac_f32_e32 v18, 0.5, v17
	v_add_f32_e32 v4, v13, v6
	v_dual_sub_f32 v6, v13, v6 :: v_dual_fmamk_f32 v13, v31, 0xbf5db3d7, v58
	v_add_f32_e32 v11, v36, v11
	v_mul_f32_e32 v27, 0xbf5db3d7, v12
	v_dual_mul_f32 v29, -0.5, v12 :: v_dual_sub_f32 v12, v24, v18
	s_delay_alu instid0(VALU_DEP_4) | instskip(NEXT) | instid1(VALU_DEP_4)
	v_fmac_f32_e32 v28, 0x3f5db3d7, v13
	v_dual_fmac_f32 v26, 0.5, v13 :: v_dual_add_f32 v9, v19, v11
	v_sub_f32_e32 v11, v19, v11
	v_mul_f32_e32 v19, 0xbf5db3d7, v20
	v_fmac_f32_e32 v58, 0x3f5db3d7, v31
	s_delay_alu instid0(VALU_DEP_4)
	v_add_f32_e32 v16, v23, v26
	ds_store_2addr_b64 v40, v[4:5], v[8:9] offset1:153
	v_dual_mul_f32 v20, -0.5, v20 :: v_dual_fmac_f32 v19, -0.5, v53
	v_fmac_f32_e32 v27, -0.5, v58
	v_fmac_f32_e32 v29, 0x3f5db3d7, v58
	v_add_f32_e32 v4, v24, v18
	s_delay_alu instid0(VALU_DEP_4) | instskip(SKIP_3) | instid1(VALU_DEP_4)
	v_fmac_f32_e32 v20, 0x3f5db3d7, v53
	v_add_f32_e32 v8, v14, v19
	v_dual_sub_f32 v14, v14, v19 :: v_dual_mul_f32 v21, 0.5, v21
	v_add_f32_e32 v18, v22, v27
	v_add_f32_e32 v9, v38, v20
	v_dual_add_f32 v19, v48, v29 :: v_dual_sub_f32 v22, v22, v27
	s_delay_alu instid0(VALU_DEP_4) | instskip(SKIP_1) | instid1(VALU_DEP_2)
	v_fmac_f32_e32 v21, 0x3f5db3d7, v17
	v_add_f32_e32 v17, v25, v28
	v_add_f32_e32 v5, v15, v21
	v_sub_f32_e32 v13, v15, v21
	v_dual_sub_f32 v15, v38, v20 :: v_dual_sub_f32 v20, v23, v26
	v_sub_f32_e32 v21, v25, v28
	v_sub_f32_e32 v23, v48, v29
	ds_store_2addr_b64 v1, v[6:7], v[10:11] offset0:22 offset1:175
	ds_store_2addr_b64 v0, v[4:5], v[16:17] offset0:50 offset1:203
	;; [unrolled: 1-line block ×5, first 2 shown]
	global_wb scope:SCOPE_SE
	s_wait_dscnt 0x0
	s_barrier_signal -1
	s_barrier_wait -1
	global_inv scope:SCOPE_SE
	s_and_saveexec_b32 s0, vcc_lo
	s_cbranch_execz .LBB0_21
; %bb.20:
	v_dual_mov_b32 v33, 0 :: v_dual_add_nc_u32 v6, 0x99, v32
	v_lshl_add_u32 v28, v32, 3, 0
	v_add_co_u32 v34, vcc_lo, s8, v34
	s_delay_alu instid0(VALU_DEP_3)
	v_lshlrev_b64_e32 v[4:5], 3, v[32:33]
	s_wait_alu 0xfffd
	v_add_co_ci_u32_e32 v35, vcc_lo, s9, v35, vcc_lo
	v_dual_mov_b32 v7, v33 :: v_dual_add_nc_u32 v8, 0x132, v32
	v_dual_mov_b32 v9, v33 :: v_dual_add_nc_u32 v14, 0x800, v28
	ds_load_2addr_b64 v[0:3], v28 offset1:153
	v_add_co_u32 v10, vcc_lo, v34, v4
	s_wait_alu 0xfffd
	v_add_co_ci_u32_e32 v11, vcc_lo, v35, v5, vcc_lo
	v_lshlrev_b64_e32 v[12:13], 3, v[6:7]
	ds_load_2addr_b64 v[4:7], v14 offset0:50 offset1:203
	v_dual_mov_b32 v15, v33 :: v_dual_add_nc_u32 v14, 0x1cb, v32
	v_lshlrev_b64_e32 v[8:9], 3, v[8:9]
	v_dual_mov_b32 v17, v33 :: v_dual_add_nc_u32 v16, 0x264, v32
	v_add_co_u32 v12, vcc_lo, v34, v12
	s_delay_alu instid0(VALU_DEP_4)
	v_lshlrev_b64_e32 v[14:15], 3, v[14:15]
	s_wait_alu 0xfffd
	v_add_co_ci_u32_e32 v13, vcc_lo, v35, v13, vcc_lo
	v_add_co_u32 v8, vcc_lo, v34, v8
	s_wait_alu 0xfffd
	v_add_co_ci_u32_e32 v9, vcc_lo, v35, v9, vcc_lo
	v_add_co_u32 v14, vcc_lo, v34, v14
	s_wait_alu 0xfffd
	v_add_co_ci_u32_e32 v15, vcc_lo, v35, v15, vcc_lo
	v_dual_mov_b32 v19, v33 :: v_dual_add_nc_u32 v20, 0x1000, v28
	v_add_nc_u32_e32 v18, 0x2fd, v32
	s_wait_dscnt 0x1
	s_clause 0x1
	global_store_b64 v[10:11], v[0:1], off
	global_store_b64 v[12:13], v[2:3], off
	s_wait_dscnt 0x0
	s_clause 0x1
	global_store_b64 v[8:9], v[4:5], off
	global_store_b64 v[14:15], v[6:7], off
	v_mov_b32_e32 v9, v33
	v_lshlrev_b64_e32 v[4:5], 3, v[16:17]
	v_dual_mov_b32 v11, v33 :: v_dual_add_nc_u32 v8, 0x396, v32
	v_lshlrev_b64_e32 v[6:7], 3, v[18:19]
	v_dual_mov_b32 v15, v33 :: v_dual_add_nc_u32 v10, 0x42f, v32
	s_delay_alu instid0(VALU_DEP_4) | instskip(NEXT) | instid1(VALU_DEP_4)
	v_add_co_u32 v16, vcc_lo, v34, v4
	v_lshlrev_b64_e32 v[8:9], 3, v[8:9]
	s_wait_alu 0xfffd
	v_add_co_ci_u32_e32 v17, vcc_lo, v35, v5, vcc_lo
	v_add_co_u32 v18, vcc_lo, v34, v6
	s_wait_alu 0xfffd
	v_add_co_ci_u32_e32 v19, vcc_lo, v35, v7, vcc_lo
	ds_load_2addr_b64 v[0:3], v20 offset0:100 offset1:253
	v_dual_mov_b32 v13, v33 :: v_dual_add_nc_u32 v4, 0x1c00, v28
	v_add_co_u32 v20, vcc_lo, v34, v8
	v_dual_mov_b32 v27, v33 :: v_dual_add_nc_u32 v12, 0x4c8, v32
	s_wait_alu 0xfffd
	v_add_co_ci_u32_e32 v21, vcc_lo, v35, v9, vcc_lo
	v_lshlrev_b64_e32 v[8:9], 3, v[10:11]
	v_add_nc_u32_e32 v14, 0x561, v32
	v_lshlrev_b64_e32 v[12:13], 3, v[12:13]
	v_add_nc_u32_e32 v10, 0x2400, v28
	ds_load_2addr_b64 v[4:7], v4 offset0:22 offset1:175
	v_add_nc_u32_e32 v26, 0x5fa, v32
	v_add_co_u32 v22, vcc_lo, v34, v8
	v_lshlrev_b64_e32 v[24:25], 3, v[14:15]
	v_add_nc_u32_e32 v14, 0x2e00, v28
	s_wait_alu 0xfffd
	v_add_co_ci_u32_e32 v23, vcc_lo, v35, v9, vcc_lo
	ds_load_2addr_b64 v[8:11], v10 offset0:72 offset1:225
	v_add_co_u32 v28, vcc_lo, v34, v12
	s_wait_alu 0xfffd
	v_add_co_ci_u32_e32 v29, vcc_lo, v35, v13, vcc_lo
	ds_load_2addr_b64 v[12:15], v14 offset0:58 offset1:211
	v_add_nc_u32_e32 v32, 0x693, v32
	v_lshlrev_b64_e32 v[26:27], 3, v[26:27]
	v_add_co_u32 v24, vcc_lo, v34, v24
	s_wait_alu 0xfffd
	v_add_co_ci_u32_e32 v25, vcc_lo, v35, v25, vcc_lo
	v_lshlrev_b64_e32 v[30:31], 3, v[32:33]
	s_delay_alu instid0(VALU_DEP_4) | instskip(SKIP_2) | instid1(VALU_DEP_3)
	v_add_co_u32 v26, vcc_lo, v34, v26
	s_wait_alu 0xfffd
	v_add_co_ci_u32_e32 v27, vcc_lo, v35, v27, vcc_lo
	v_add_co_u32 v30, vcc_lo, v34, v30
	s_wait_alu 0xfffd
	v_add_co_ci_u32_e32 v31, vcc_lo, v35, v31, vcc_lo
	s_wait_dscnt 0x3
	s_clause 0x1
	global_store_b64 v[16:17], v[0:1], off
	global_store_b64 v[18:19], v[2:3], off
	s_wait_dscnt 0x2
	s_clause 0x1
	global_store_b64 v[20:21], v[4:5], off
	global_store_b64 v[22:23], v[6:7], off
	s_wait_dscnt 0x1
	s_clause 0x1
	global_store_b64 v[28:29], v[8:9], off
	global_store_b64 v[24:25], v[10:11], off
	s_wait_dscnt 0x0
	s_clause 0x1
	global_store_b64 v[26:27], v[12:13], off
	global_store_b64 v[30:31], v[14:15], off
.LBB0_21:
	s_nop 0
	s_sendmsg sendmsg(MSG_DEALLOC_VGPRS)
	s_endpgm
	.section	.rodata,"a",@progbits
	.p2align	6, 0x0
	.amdhsa_kernel fft_rtc_back_len1836_factors_17_3_3_2_6_wgs_153_tpt_153_halfLds_sp_ip_CI_unitstride_sbrr_C2R_dirReg
		.amdhsa_group_segment_fixed_size 0
		.amdhsa_private_segment_fixed_size 0
		.amdhsa_kernarg_size 88
		.amdhsa_user_sgpr_count 2
		.amdhsa_user_sgpr_dispatch_ptr 0
		.amdhsa_user_sgpr_queue_ptr 0
		.amdhsa_user_sgpr_kernarg_segment_ptr 1
		.amdhsa_user_sgpr_dispatch_id 0
		.amdhsa_user_sgpr_private_segment_size 0
		.amdhsa_wavefront_size32 1
		.amdhsa_uses_dynamic_stack 0
		.amdhsa_enable_private_segment 0
		.amdhsa_system_sgpr_workgroup_id_x 1
		.amdhsa_system_sgpr_workgroup_id_y 0
		.amdhsa_system_sgpr_workgroup_id_z 0
		.amdhsa_system_sgpr_workgroup_info 0
		.amdhsa_system_vgpr_workitem_id 0
		.amdhsa_next_free_vgpr 177
		.amdhsa_next_free_sgpr 32
		.amdhsa_reserve_vcc 1
		.amdhsa_float_round_mode_32 0
		.amdhsa_float_round_mode_16_64 0
		.amdhsa_float_denorm_mode_32 3
		.amdhsa_float_denorm_mode_16_64 3
		.amdhsa_fp16_overflow 0
		.amdhsa_workgroup_processor_mode 1
		.amdhsa_memory_ordered 1
		.amdhsa_forward_progress 0
		.amdhsa_round_robin_scheduling 0
		.amdhsa_exception_fp_ieee_invalid_op 0
		.amdhsa_exception_fp_denorm_src 0
		.amdhsa_exception_fp_ieee_div_zero 0
		.amdhsa_exception_fp_ieee_overflow 0
		.amdhsa_exception_fp_ieee_underflow 0
		.amdhsa_exception_fp_ieee_inexact 0
		.amdhsa_exception_int_div_zero 0
	.end_amdhsa_kernel
	.text
.Lfunc_end0:
	.size	fft_rtc_back_len1836_factors_17_3_3_2_6_wgs_153_tpt_153_halfLds_sp_ip_CI_unitstride_sbrr_C2R_dirReg, .Lfunc_end0-fft_rtc_back_len1836_factors_17_3_3_2_6_wgs_153_tpt_153_halfLds_sp_ip_CI_unitstride_sbrr_C2R_dirReg
                                        ; -- End function
	.section	.AMDGPU.csdata,"",@progbits
; Kernel info:
; codeLenInByte = 12776
; NumSgprs: 34
; NumVgprs: 177
; ScratchSize: 0
; MemoryBound: 0
; FloatMode: 240
; IeeeMode: 1
; LDSByteSize: 0 bytes/workgroup (compile time only)
; SGPRBlocks: 4
; VGPRBlocks: 22
; NumSGPRsForWavesPerEU: 34
; NumVGPRsForWavesPerEU: 177
; Occupancy: 8
; WaveLimiterHint : 1
; COMPUTE_PGM_RSRC2:SCRATCH_EN: 0
; COMPUTE_PGM_RSRC2:USER_SGPR: 2
; COMPUTE_PGM_RSRC2:TRAP_HANDLER: 0
; COMPUTE_PGM_RSRC2:TGID_X_EN: 1
; COMPUTE_PGM_RSRC2:TGID_Y_EN: 0
; COMPUTE_PGM_RSRC2:TGID_Z_EN: 0
; COMPUTE_PGM_RSRC2:TIDIG_COMP_CNT: 0
	.text
	.p2alignl 7, 3214868480
	.fill 96, 4, 3214868480
	.type	__hip_cuid_a31febead6722737,@object ; @__hip_cuid_a31febead6722737
	.section	.bss,"aw",@nobits
	.globl	__hip_cuid_a31febead6722737
__hip_cuid_a31febead6722737:
	.byte	0                               ; 0x0
	.size	__hip_cuid_a31febead6722737, 1

	.ident	"AMD clang version 19.0.0git (https://github.com/RadeonOpenCompute/llvm-project roc-6.4.0 25133 c7fe45cf4b819c5991fe208aaa96edf142730f1d)"
	.section	".note.GNU-stack","",@progbits
	.addrsig
	.addrsig_sym __hip_cuid_a31febead6722737
	.amdgpu_metadata
---
amdhsa.kernels:
  - .args:
      - .actual_access:  read_only
        .address_space:  global
        .offset:         0
        .size:           8
        .value_kind:     global_buffer
      - .offset:         8
        .size:           8
        .value_kind:     by_value
      - .actual_access:  read_only
        .address_space:  global
        .offset:         16
        .size:           8
        .value_kind:     global_buffer
      - .actual_access:  read_only
        .address_space:  global
        .offset:         24
        .size:           8
        .value_kind:     global_buffer
      - .offset:         32
        .size:           8
        .value_kind:     by_value
      - .actual_access:  read_only
        .address_space:  global
        .offset:         40
        .size:           8
        .value_kind:     global_buffer
      - .actual_access:  read_only
        .address_space:  global
        .offset:         48
        .size:           8
        .value_kind:     global_buffer
      - .offset:         56
        .size:           4
        .value_kind:     by_value
      - .actual_access:  read_only
        .address_space:  global
        .offset:         64
        .size:           8
        .value_kind:     global_buffer
      - .actual_access:  read_only
        .address_space:  global
        .offset:         72
        .size:           8
        .value_kind:     global_buffer
      - .address_space:  global
        .offset:         80
        .size:           8
        .value_kind:     global_buffer
    .group_segment_fixed_size: 0
    .kernarg_segment_align: 8
    .kernarg_segment_size: 88
    .language:       OpenCL C
    .language_version:
      - 2
      - 0
    .max_flat_workgroup_size: 153
    .name:           fft_rtc_back_len1836_factors_17_3_3_2_6_wgs_153_tpt_153_halfLds_sp_ip_CI_unitstride_sbrr_C2R_dirReg
    .private_segment_fixed_size: 0
    .sgpr_count:     34
    .sgpr_spill_count: 0
    .symbol:         fft_rtc_back_len1836_factors_17_3_3_2_6_wgs_153_tpt_153_halfLds_sp_ip_CI_unitstride_sbrr_C2R_dirReg.kd
    .uniform_work_group_size: 1
    .uses_dynamic_stack: false
    .vgpr_count:     177
    .vgpr_spill_count: 0
    .wavefront_size: 32
    .workgroup_processor_mode: 1
amdhsa.target:   amdgcn-amd-amdhsa--gfx1201
amdhsa.version:
  - 1
  - 2
...

	.end_amdgpu_metadata
